;; amdgpu-corpus repo=zjin-lcf/HeCBench kind=compiled arch=gfx1250 opt=O3
	.amdgcn_target "amdgcn-amd-amdhsa--gfx1250"
	.amdhsa_code_object_version 6
	.text
	.protected	_Z16shuffling_kernelPhPKhjj ; -- Begin function _Z16shuffling_kernelPhPKhjj
	.globl	_Z16shuffling_kernelPhPKhjj
	.p2align	8
	.type	_Z16shuffling_kernelPhPKhjj,@function
_Z16shuffling_kernelPhPKhjj:            ; @_Z16shuffling_kernelPhPKhjj
; %bb.0:
	s_load_b32 s8, s[0:1], 0x24
	s_bfe_u32 s9, ttmp6, 0x4000c
	s_clause 0x1
	s_load_b64 s[2:3], s[0:1], 0x10
	s_load_b128 s[4:7], s[0:1], 0x0
	s_add_co_i32 s9, s9, 1
	s_wait_xcnt 0x0
	s_and_b32 s0, ttmp6, 15
	s_mul_i32 s1, ttmp9, s9
	s_getreg_b32 s9, hwreg(HW_REG_IB_STS2, 6, 4)
	s_add_co_i32 s0, s0, s1
	v_mov_b32_e32 v7, 0
	v_mov_b64_e32 v[2:3], 0
	s_delay_alu instid0(VALU_DEP_2)
	v_mov_b32_e32 v5, v7
	s_wait_kmcnt 0x0
	s_and_b32 s1, s8, 0xffff
	s_cmp_eq_u32 s9, 0
	s_mov_b32 s9, 0
	s_cselect_b32 s0, ttmp9, s0
	s_delay_alu instid0(SALU_CYCLE_1)
	v_mad_u32 v4, s0, s1, v0
	v_sub_co_u32 v6, s1, s2, 1
	s_and_b32 vcc_lo, exec_lo, s1
	v_readfirstlane_b32 s0, v6
	v_add_nc_u64_e32 v[0:1], s[4:5], v[4:5]
	s_cbranch_vccnz .LBB0_3
; %bb.1:
	v_mov_b64_e32 v[2:3], 0
	s_delay_alu instid0(VALU_DEP_2) | instskip(SKIP_1) | instid1(SALU_CYCLE_1)
	v_mov_b64_e32 v[8:9], v[0:1]
	s_mov_b32 s8, s2
	s_mov_b64 s[10:11], s[8:9]
	s_mov_b32 s8, s3
.LBB0_2:                                ; =>This Inner Loop Header: Depth=1
	global_load_u8 v10, v7, s[6:7]
	s_add_nc_u64 s[10:11], s[10:11], -1
	s_wait_xcnt 0x0
	s_add_nc_u64 s[6:7], s[6:7], 1
	s_cmp_lg_u64 s[10:11], 0
	s_wait_loadcnt 0x0
	v_and_b32_e32 v6, 0xff, v10
	global_store_b8 v[8:9], v10, off
	s_wait_xcnt 0x0
	v_add_nc_u64_e32 v[8:9], s[8:9], v[8:9]
	v_add_nc_u64_e32 v[2:3], v[2:3], v[6:7]
	s_cbranch_scc1 .LBB0_2
.LBB0_3:
	s_cmp_eq_u32 s0, 0
	s_mov_b32 s7, 0
	s_cbranch_scc1 .LBB0_8
; %bb.4:
	s_mov_b32 s1, s7
	s_mov_b32 s6, s3
	v_xor_b32_e32 v2, v2, v4
	s_mul_u64 s[2:3], s[6:7], s[0:1]
	s_delay_alu instid0(SALU_CYCLE_1) | instskip(NEXT) | instid1(SALU_CYCLE_1)
	s_add_nc_u64 s[2:3], s[4:5], s[2:3]
	v_add_nc_u64_e32 v[6:7], s[2:3], v[4:5]
	v_mov_b32_e32 v5, 0
	s_sub_nc_u64 s[2:3], 0, s[6:7]
	s_branch .LBB0_6
.LBB0_5:                                ;   in Loop: Header=BB0_6 Depth=1
	s_or_b32 exec_lo, exec_lo, s4
	s_delay_alu instid0(VALU_DEP_1) | instskip(NEXT) | instid1(VALU_DEP_4)
	v_mad_nc_u64_u32 v[10:11], v4, s6, v[0:1]
	v_mad_u32 v3, 0xe48e2825, v3, v9
	s_add_nc_u64 s[0:1], s[0:1], -1
	global_load_u8 v4, v[6:7], off
	global_load_u8 v12, v[10:11], off
	s_cmp_lg_u64 s[0:1], 0
	v_mad_u32 v9, 0x26f19d38, v2, v3
	s_wait_loadcnt 0x1
	global_store_b8 v[10:11], v4, off
	s_wait_loadcnt 0x0
	global_store_b8 v[6:7], v12, off
	s_wait_xcnt 0x0
	v_add_nc_u64_e32 v[6:7], s[2:3], v[6:7]
	v_mov_b64_e32 v[2:3], v[8:9]
	s_cbranch_scc0 .LBB0_8
.LBB0_6:                                ; =>This Inner Loop Header: Depth=1
	s_delay_alu instid0(VALU_DEP_1) | instskip(SKIP_1) | instid1(VALU_DEP_1)
	v_mad_nc_u64_u32 v[8:9], 0xe48e2825, v2, 1
	s_mov_b32 s4, exec_lo
	v_mov_b32_e32 v4, v8
	s_delay_alu instid0(VALU_DEP_1)
	v_cmpx_le_u64_e64 s[0:1], v[4:5]
	s_cbranch_execz .LBB0_5
; %bb.7:                                ;   in Loop: Header=BB0_6 Depth=1
	v_cvt_f32_u32_e32 v10, s0
	s_sub_co_i32 s5, 0, s0
	s_delay_alu instid0(VALU_DEP_1) | instskip(SKIP_1) | instid1(TRANS32_DEP_1)
	v_rcp_iflag_f32_e32 v10, v10
	v_nop
	v_mul_f32_e32 v10, 0x4f7ffffe, v10
	s_delay_alu instid0(VALU_DEP_1) | instskip(NEXT) | instid1(VALU_DEP_1)
	v_cvt_u32_f32_e32 v10, v10
	v_mul_lo_u32 v11, s5, v10
	s_delay_alu instid0(VALU_DEP_1) | instskip(NEXT) | instid1(VALU_DEP_1)
	v_mul_hi_u32 v11, v10, v11
	v_add_nc_u32_e32 v10, v10, v11
	s_delay_alu instid0(VALU_DEP_1) | instskip(NEXT) | instid1(VALU_DEP_1)
	v_mul_hi_u32 v10, v4, v10
	v_mul_lo_u32 v10, v10, s0
	s_delay_alu instid0(VALU_DEP_1) | instskip(NEXT) | instid1(VALU_DEP_1)
	v_sub_nc_u32_e32 v4, v4, v10
	v_subrev_nc_u32_e32 v10, s0, v4
	v_cmp_le_u32_e32 vcc_lo, s0, v4
	s_delay_alu instid0(VALU_DEP_2) | instskip(NEXT) | instid1(VALU_DEP_1)
	v_cndmask_b32_e32 v4, v4, v10, vcc_lo
	v_subrev_nc_u32_e32 v10, s0, v4
	v_cmp_le_u32_e32 vcc_lo, s0, v4
	s_delay_alu instid0(VALU_DEP_2)
	v_cndmask_b32_e32 v4, v4, v10, vcc_lo
	s_branch .LBB0_5
.LBB0_8:
	s_endpgm
	.section	.rodata,"a",@progbits
	.p2align	6, 0x0
	.amdhsa_kernel _Z16shuffling_kernelPhPKhjj
		.amdhsa_group_segment_fixed_size 0
		.amdhsa_private_segment_fixed_size 0
		.amdhsa_kernarg_size 280
		.amdhsa_user_sgpr_count 2
		.amdhsa_user_sgpr_dispatch_ptr 0
		.amdhsa_user_sgpr_queue_ptr 0
		.amdhsa_user_sgpr_kernarg_segment_ptr 1
		.amdhsa_user_sgpr_dispatch_id 0
		.amdhsa_user_sgpr_kernarg_preload_length 0
		.amdhsa_user_sgpr_kernarg_preload_offset 0
		.amdhsa_user_sgpr_private_segment_size 0
		.amdhsa_wavefront_size32 1
		.amdhsa_uses_dynamic_stack 0
		.amdhsa_enable_private_segment 0
		.amdhsa_system_sgpr_workgroup_id_x 1
		.amdhsa_system_sgpr_workgroup_id_y 0
		.amdhsa_system_sgpr_workgroup_id_z 0
		.amdhsa_system_sgpr_workgroup_info 0
		.amdhsa_system_vgpr_workitem_id 0
		.amdhsa_next_free_vgpr 13
		.amdhsa_next_free_sgpr 12
		.amdhsa_named_barrier_count 0
		.amdhsa_reserve_vcc 1
		.amdhsa_float_round_mode_32 0
		.amdhsa_float_round_mode_16_64 0
		.amdhsa_float_denorm_mode_32 3
		.amdhsa_float_denorm_mode_16_64 3
		.amdhsa_fp16_overflow 0
		.amdhsa_memory_ordered 1
		.amdhsa_forward_progress 1
		.amdhsa_inst_pref_size 5
		.amdhsa_round_robin_scheduling 0
		.amdhsa_exception_fp_ieee_invalid_op 0
		.amdhsa_exception_fp_denorm_src 0
		.amdhsa_exception_fp_ieee_div_zero 0
		.amdhsa_exception_fp_ieee_overflow 0
		.amdhsa_exception_fp_ieee_underflow 0
		.amdhsa_exception_fp_ieee_inexact 0
		.amdhsa_exception_int_div_zero 0
	.end_amdhsa_kernel
	.text
.Lfunc_end0:
	.size	_Z16shuffling_kernelPhPKhjj, .Lfunc_end0-_Z16shuffling_kernelPhPKhjj
                                        ; -- End function
	.set _Z16shuffling_kernelPhPKhjj.num_vgpr, 13
	.set _Z16shuffling_kernelPhPKhjj.num_agpr, 0
	.set _Z16shuffling_kernelPhPKhjj.numbered_sgpr, 12
	.set _Z16shuffling_kernelPhPKhjj.num_named_barrier, 0
	.set _Z16shuffling_kernelPhPKhjj.private_seg_size, 0
	.set _Z16shuffling_kernelPhPKhjj.uses_vcc, 1
	.set _Z16shuffling_kernelPhPKhjj.uses_flat_scratch, 0
	.set _Z16shuffling_kernelPhPKhjj.has_dyn_sized_stack, 0
	.set _Z16shuffling_kernelPhPKhjj.has_recursion, 0
	.set _Z16shuffling_kernelPhPKhjj.has_indirect_call, 0
	.section	.AMDGPU.csdata,"",@progbits
; Kernel info:
; codeLenInByte = 568
; TotalNumSgprs: 14
; NumVgprs: 13
; ScratchSize: 0
; MemoryBound: 0
; FloatMode: 240
; IeeeMode: 1
; LDSByteSize: 0 bytes/workgroup (compile time only)
; SGPRBlocks: 0
; VGPRBlocks: 0
; NumSGPRsForWavesPerEU: 14
; NumVGPRsForWavesPerEU: 13
; NamedBarCnt: 0
; Occupancy: 16
; WaveLimiterHint : 0
; COMPUTE_PGM_RSRC2:SCRATCH_EN: 0
; COMPUTE_PGM_RSRC2:USER_SGPR: 2
; COMPUTE_PGM_RSRC2:TRAP_HANDLER: 0
; COMPUTE_PGM_RSRC2:TGID_X_EN: 1
; COMPUTE_PGM_RSRC2:TGID_Y_EN: 0
; COMPUTE_PGM_RSRC2:TGID_Z_EN: 0
; COMPUTE_PGM_RSRC2:TIDIG_COMP_CNT: 0
	.text
	.protected	_Z24statistical_tests_kernelPjPKdddPKhjjjj ; -- Begin function _Z24statistical_tests_kernelPjPKdddPKhjjjj
	.globl	_Z24statistical_tests_kernelPjPKdddPKhjjjj
	.p2align	8
	.type	_Z24statistical_tests_kernelPjPKdddPKhjjjj,@function
_Z24statistical_tests_kernelPjPKdddPKhjjjj: ; @_Z24statistical_tests_kernelPjPKdddPKhjjjj
; %bb.0:
	s_clause 0x1
	s_load_b128 s[12:15], s[0:1], 0x28
	s_load_b64 s[16:17], s[0:1], 0x20
	s_bfe_u32 s4, ttmp6, 0x4000c
	s_and_b32 s3, ttmp6, 15
	s_add_co_i32 s4, s4, 1
	s_getreg_b32 s5, hwreg(HW_REG_IB_STS2, 6, 4)
	s_mul_i32 s4, ttmp9, s4
	s_load_b32 s18, s[0:1], 0x44
	s_add_co_i32 s3, s3, s4
	s_wait_kmcnt 0x0
	s_cvt_f32_u32 s2, s15
	s_sub_co_i32 s6, 0, s15
	s_delay_alu instid0(SALU_CYCLE_2) | instskip(SKIP_1) | instid1(TRANS32_DEP_1)
	v_rcp_iflag_f32_e32 v1, s2
	v_nop
	v_readfirstlane_b32 s2, v1
	s_mul_f32 s2, s2, 0x4f7ffffe
	s_delay_alu instid0(SALU_CYCLE_3) | instskip(NEXT) | instid1(SALU_CYCLE_3)
	s_cvt_u32_f32 s2, s2
	s_mul_i32 s6, s6, s2
	s_delay_alu instid0(SALU_CYCLE_1) | instskip(NEXT) | instid1(SALU_CYCLE_1)
	s_mul_hi_u32 s6, s2, s6
	s_add_co_i32 s2, s2, s6
	s_cmp_eq_u32 s5, 0
	s_cselect_b32 s3, ttmp9, s3
	s_delay_alu instid0(SALU_CYCLE_1) | instskip(NEXT) | instid1(SALU_CYCLE_1)
	s_mul_hi_u32 s2, s3, s2
	s_mul_i32 s4, s2, s15
	s_add_co_i32 s20, s2, 1
	s_sub_co_i32 s19, s3, s4
	s_load_b256 s[4:11], s[0:1], 0x0
	s_sub_co_i32 s21, s19, s15
	s_cmp_ge_u32 s19, s15
	s_wait_xcnt 0x0
	s_cselect_b32 s0, s20, s2
	s_cselect_b32 s1, s21, s19
	s_add_co_i32 s2, s0, 1
	s_cmp_ge_u32 s1, s15
	s_cselect_b32 s1, s2, s0
	s_and_b32 s2, s18, 0xffff
	s_mul_i32 s0, s1, s15
	s_delay_alu instid0(SALU_CYCLE_1)
	s_sub_co_i32 s0, s3, s0
	s_cmp_le_u32 s15, s3
	v_mad_u32 v0, s0, s2, v0
	s_mov_b32 s0, 0
	s_cbranch_scc0 .LBB1_26
; %bb.1:
	s_mov_b32 s18, 0
	s_cmp_eq_u32 s1, 1
                                        ; implicit-def: $vgpr2_vgpr3
	s_cbranch_scc0 .LBB1_27
; %bb.2:
	v_mov_b32_e32 v1, 0
	s_cmp_eq_u32 s13, 0
	s_mov_b32 s1, 0
	s_cbranch_scc1 .LBB1_6
; %bb.3:
	v_mov_b64_e32 v[2:3], 0
	v_add_nc_u64_e32 v[4:5], s[16:17], v[0:1]
	v_mov_b64_e32 v[6:7], 0
	s_mov_b32 s0, s13
	s_mov_b32 s15, s1
	s_mov_b64 s[2:3], 0
.LBB1_4:                                ; =>This Inner Loop Header: Depth=1
	global_load_u8 v1, v[4:5], off
	s_add_nc_u64 s[2:3], s[2:3], 1
	s_wait_xcnt 0x0
	v_add_nc_u64_e32 v[4:5], s[14:15], v[4:5]
	v_cvt_f64_u32_e32 v[8:9], s3
	v_cvt_f64_u32_e32 v[10:11], s2
	s_cmp_lg_u64 s[0:1], s[2:3]
	s_delay_alu instid0(VALU_DEP_2) | instskip(NEXT) | instid1(VALU_DEP_1)
	v_ldexp_f64 v[8:9], v[8:9], 32
	v_add_f64_e32 v[8:9], v[8:9], v[10:11]
	s_wait_loadcnt 0x0
	v_cvt_f64_u32_e32 v[12:13], v1
	s_delay_alu instid0(VALU_DEP_1) | instskip(SKIP_1) | instid1(VALU_DEP_1)
	v_add_f64_e32 v[2:3], v[2:3], v[12:13]
	s_wait_kmcnt 0x0
	v_fma_f64 v[8:9], -s[8:9], v[8:9], v[2:3]
	s_delay_alu instid0(VALU_DEP_1) | instskip(SKIP_1) | instid1(VALU_DEP_1)
	v_cmp_lt_f64_e64 vcc_lo, v[6:7], |v[8:9]|
	v_and_b32_e32 v1, 0x7fffffff, v9
	v_dual_cndmask_b32 v7, v7, v1 :: v_dual_cndmask_b32 v6, v6, v8
	s_cbranch_scc1 .LBB1_4
; %bb.5:
	s_delay_alu instid0(VALU_DEP_1)
	v_cvt_f32_f64_e32 v1, v[6:7]
.LBB1_6:
	s_wait_kmcnt 0x0
	s_load_b64 s[0:1], s[6:7], 0x0
	v_mov_b64_e32 v[2:3], s[4:5]
	s_wait_kmcnt 0x0
	v_cvt_f32_f64_e32 v4, s[0:1]
	s_mov_b32 s0, exec_lo
	s_delay_alu instid0(VALU_DEP_1)
	v_cmpx_ngt_f32_e32 v1, v4
	s_cbranch_execz .LBB1_10
; %bb.7:
	s_add_nc_u64 s[2:3], s[4:5], 4
	s_mov_b32 s1, exec_lo
	v_mov_b64_e32 v[2:3], s[2:3]
	v_cmpx_neq_f32_e32 v1, v4
	s_xor_b32 s1, exec_lo, s1
; %bb.8:
	s_add_nc_u64 s[2:3], s[4:5], 8
	s_delay_alu instid0(SALU_CYCLE_1)
	v_mov_b64_e32 v[2:3], s[2:3]
; %bb.9:
	s_and_not1_saveexec_b32 s1, s1
	s_delay_alu instid0(SALU_CYCLE_1)
	s_or_b32 exec_lo, exec_lo, s1
.LBB1_10:
	s_delay_alu instid0(SALU_CYCLE_1)
	s_or_b32 exec_lo, exec_lo, s0
	v_dual_mov_b32 v16, 1 :: v_dual_add_nc_u32 v1, s14, v0
	s_add_co_i32 s0, s13, -1
	s_mov_b32 s1, 0
	s_cmp_lt_u32 s0, 2
	global_atomic_add_u32 v[2:3], v16, off scope:SCOPE_DEV
	s_clause 0x1
	global_load_u8 v4, v0, s[16:17]
	global_load_u8 v5, v1, s[16:17]
	s_wait_loadcnt 0x1
	s_wait_xcnt 0x0
	v_and_b32_e32 v1, 0xffff, v4
	s_wait_loadcnt 0x0
	v_cmp_le_u16_e64 s19, v4, v5
	s_delay_alu instid0(VALU_DEP_2) | instskip(SKIP_1) | instid1(VALU_DEP_2)
	v_cvt_f64_u32_e32 v[2:3], v1
	v_mov_b32_e32 v1, 0
	v_cmp_le_f64_e64 s20, s[10:11], v[2:3]
	s_delay_alu instid0(VALU_DEP_2)
	v_add_nc_u64_e32 v[2:3], s[16:17], v[0:1]
	s_cbranch_scc1 .LBB1_30
; %bb.11:
	v_mov_b64_e32 v[8:9], 0
	v_mov_b64_e32 v[10:11], 1.0
	v_mov_b64_e32 v[6:7], 1.0
	v_mov_b64_e32 v[4:5], 0
	v_mov_b64_e32 v[12:13], v[2:3]
	v_dual_mov_b32 v1, 0 :: v_dual_mov_b32 v17, 1
	s_mov_b32 s15, s1
	s_add_nc_u64 s[2:3], s[0:1], -1
	s_lshl_b64 s[8:9], s[14:15], 1
.LBB1_12:                               ; =>This Inner Loop Header: Depth=1
	s_delay_alu instid0(VALU_DEP_2) | instskip(NEXT) | instid1(VALU_DEP_1)
	v_mov_b64_e32 v[14:15], v[12:13]
	v_add_nc_u64_e32 v[12:13], s[14:15], v[14:15]
	v_add_nc_u64_e32 v[14:15], s[8:9], v[14:15]
	s_clause 0x1
	global_load_u8 v18, v[12:13], off
	global_load_u8 v19, v[14:15], off
	s_wait_loadcnt 0x0
	v_cmp_le_u16_e64 s21, v18, v19
	s_xor_b32 s22, s19, s21
	s_delay_alu instid0(SALU_CYCLE_1) | instskip(SKIP_2) | instid1(SALU_CYCLE_1)
	s_xor_b32 s22, s22, -1
	s_wait_xcnt 0x0
	s_and_saveexec_b32 s23, s22
	s_xor_b32 s22, exec_lo, s23
; %bb.13:                               ;   in Loop: Header=BB1_12 Depth=1
	v_add_nc_u32_e32 v17, 1, v17
; %bb.14:                               ;   in Loop: Header=BB1_12 Depth=1
	s_and_not1_saveexec_b32 s22, s22
	s_cbranch_execz .LBB1_18
; %bb.15:                               ;   in Loop: Header=BB1_12 Depth=1
	s_delay_alu instid0(VALU_DEP_1) | instskip(SKIP_1) | instid1(VALU_DEP_1)
	v_cvt_f64_u32_e32 v[14:15], v17
	s_mov_b32 s23, exec_lo
	v_cmpx_lt_f64_e32 v[8:9], v[14:15]
; %bb.16:                               ;   in Loop: Header=BB1_12 Depth=1
	v_mov_b64_e32 v[8:9], v[14:15]
; %bb.17:                               ;   in Loop: Header=BB1_12 Depth=1
	s_or_b32 exec_lo, exec_lo, s23
	v_dual_add_f64 v[10:11], 1.0, v[10:11] :: v_dual_mov_b32 v17, 1
.LBB1_18:                               ;   in Loop: Header=BB1_12 Depth=1
	s_or_b32 exec_lo, exec_lo, s22
	v_and_b32_e32 v14, 0xffff, v18
	s_delay_alu instid0(VALU_DEP_1) | instskip(NEXT) | instid1(VALU_DEP_1)
	v_cvt_f64_u32_e32 v[14:15], v14
	v_cmp_le_f64_e64 s22, s[10:11], v[14:15]
	s_xor_b32 s20, s20, s22
	s_delay_alu instid0(SALU_CYCLE_1) | instskip(NEXT) | instid1(SALU_CYCLE_1)
	s_xor_b32 s20, s20, -1
	s_and_saveexec_b32 s23, s20
	s_delay_alu instid0(SALU_CYCLE_1)
	s_xor_b32 s20, exec_lo, s23
; %bb.19:                               ;   in Loop: Header=BB1_12 Depth=1
	v_add_nc_u32_e32 v16, 1, v16
; %bb.20:                               ;   in Loop: Header=BB1_12 Depth=1
	s_and_not1_saveexec_b32 s20, s20
	s_cbranch_execz .LBB1_24
; %bb.21:                               ;   in Loop: Header=BB1_12 Depth=1
	s_delay_alu instid0(VALU_DEP_1) | instskip(SKIP_1) | instid1(VALU_DEP_1)
	v_cvt_f64_u32_e32 v[14:15], v16
	s_mov_b32 s23, exec_lo
	v_cmpx_lt_f64_e32 v[4:5], v[14:15]
; %bb.22:                               ;   in Loop: Header=BB1_12 Depth=1
	v_mov_b64_e32 v[4:5], v[14:15]
; %bb.23:                               ;   in Loop: Header=BB1_12 Depth=1
	s_or_b32 exec_lo, exec_lo, s23
	v_dual_add_f64 v[6:7], 1.0, v[6:7] :: v_dual_mov_b32 v16, 1
.LBB1_24:                               ;   in Loop: Header=BB1_12 Depth=1
	s_or_b32 exec_lo, exec_lo, s20
	v_cndmask_b32_e64 v14, 0, 1, s19
	s_add_nc_u64 s[2:3], s[2:3], -1
	s_delay_alu instid0(SALU_CYCLE_1) | instskip(NEXT) | instid1(VALU_DEP_1)
	s_cmp_lg_u64 s[2:3], 0
	v_add_nc_u32_e32 v1, v1, v14
	s_cbranch_scc0 .LBB1_31
; %bb.25:                               ;   in Loop: Header=BB1_12 Depth=1
	s_mov_b32 s19, s21
	s_mov_b32 s20, s22
	s_branch .LBB1_12
.LBB1_26:
	s_mov_b32 s18, -1
                                        ; implicit-def: $vgpr2_vgpr3
.LBB1_27:
	s_delay_alu instid0(SALU_CYCLE_1)
	s_and_b32 vcc_lo, exec_lo, s18
	s_cbranch_vccnz .LBB1_54
.LBB1_28:
	s_and_b32 vcc_lo, exec_lo, s0
	s_cbranch_vccnz .LBB1_77
.LBB1_29:
	s_endpgm
.LBB1_30:
	v_mov_b64_e32 v[4:5], 0
	v_mov_b64_e32 v[12:13], 1.0
	v_mov_b64_e32 v[6:7], 1.0
	v_mov_b64_e32 v[8:9], 0
	v_mov_b64_e32 v[10:11], 1.0
	s_branch .LBB1_32
.LBB1_31:
	v_cvt_f64_u32_e32 v[12:13], v16
	s_mov_b32 s19, s21
	s_mov_b32 s20, s22
.LBB1_32:
	v_mad_u32 v14, s0, s14, v0
	global_load_u8 v14, v14, s[16:17]
	s_wait_loadcnt 0x0
	v_cvt_f64_u32_e32 v[14:15], v14
	s_delay_alu instid0(VALU_DEP_1) | instskip(SKIP_1) | instid1(SALU_CYCLE_1)
	v_cmp_nle_f64_e32 vcc_lo, s[10:11], v[14:15]
	s_xor_b32 s2, s20, vcc_lo
	s_xor_b32 s3, s2, -1
	s_delay_alu instid0(SALU_CYCLE_1)
	s_and_saveexec_b32 s2, s3
	s_cbranch_execz .LBB1_36
; %bb.33:
	s_mov_b32 s3, exec_lo
	v_cmpx_lt_f64_e32 v[4:5], v[12:13]
; %bb.34:
	v_mov_b64_e32 v[4:5], v[12:13]
; %bb.35:
	s_or_b32 exec_lo, exec_lo, s3
	v_add_f64_e32 v[6:7], 1.0, v[6:7]
.LBB1_36:
	s_or_b32 exec_lo, exec_lo, s2
	v_mov_b32_e32 v13, 0
	s_cmp_eq_u32 s13, 1
	global_load_b64 v[14:15], v13, s[6:7] offset:8
	s_wait_loadcnt 0x0
	v_cmp_eq_f64_e32 vcc_lo, v[10:11], v[14:15]
	v_cndmask_b32_e64 v12, 20, 16, vcc_lo
	v_cmp_ngt_f64_e32 vcc_lo, v[10:11], v[14:15]
	s_delay_alu instid0(VALU_DEP_2) | instskip(NEXT) | instid1(VALU_DEP_1)
	v_dual_mov_b32 v14, 1 :: v_dual_cndmask_b32 v12, 12, v12, vcc_lo
	v_add_nc_u64_e32 v[10:11], s[4:5], v[12:13]
	s_wait_xcnt 0x0
	global_atomic_add_u32 v[10:11], v14, off scope:SCOPE_DEV
	global_load_b64 v[10:11], v13, s[6:7] offset:16
	s_wait_loadcnt 0x0
	v_cmp_eq_f64_e32 vcc_lo, v[8:9], v[10:11]
	v_cndmask_b32_e64 v12, 32, 28, vcc_lo
	v_cmp_ngt_f64_e32 vcc_lo, v[8:9], v[10:11]
	v_cndmask_b32_e64 v10, 0, 1, s19
	s_delay_alu instid0(VALU_DEP_1) | instskip(NEXT) | instid1(VALU_DEP_1)
	v_add_nc_u32_e32 v1, v1, v10
	v_sub_nc_u32_e32 v10, s13, v1
	s_delay_alu instid0(VALU_DEP_1) | instskip(NEXT) | instid1(VALU_DEP_1)
	v_max_u32_e32 v1, v1, v10
	v_cvt_f64_u32_e32 v[10:11], v1
	v_cndmask_b32_e32 v12, 24, v12, vcc_lo
	s_delay_alu instid0(VALU_DEP_1)
	v_add_nc_u64_e32 v[8:9], s[4:5], v[12:13]
	s_wait_xcnt 0x0
	global_atomic_add_u32 v[8:9], v14, off scope:SCOPE_DEV
	global_load_b64 v[8:9], v13, s[6:7] offset:24
	s_wait_loadcnt 0x0
	v_cmp_eq_f64_e32 vcc_lo, v[8:9], v[10:11]
	v_cndmask_b32_e64 v1, 44, 40, vcc_lo
	v_cmp_nlt_f64_e32 vcc_lo, v[8:9], v[10:11]
	s_delay_alu instid0(VALU_DEP_2) | instskip(NEXT) | instid1(VALU_DEP_1)
	v_cndmask_b32_e32 v12, 36, v1, vcc_lo
	v_add_nc_u64_e32 v[8:9], s[4:5], v[12:13]
	s_wait_xcnt 0x0
	global_atomic_add_u32 v[8:9], v14, off scope:SCOPE_DEV
	global_load_b64 v[8:9], v13, s[6:7] offset:32
	s_wait_loadcnt 0x0
	v_cmp_eq_f64_e32 vcc_lo, v[6:7], v[8:9]
	v_cndmask_b32_e64 v1, 56, 52, vcc_lo
	v_cmp_ngt_f64_e32 vcc_lo, v[6:7], v[8:9]
	s_delay_alu instid0(VALU_DEP_2) | instskip(NEXT) | instid1(VALU_DEP_1)
	v_cndmask_b32_e32 v12, 48, v1, vcc_lo
	v_add_nc_u64_e32 v[6:7], s[4:5], v[12:13]
	s_wait_xcnt 0x0
	global_atomic_add_u32 v[6:7], v14, off scope:SCOPE_DEV
	global_load_b64 v[6:7], v13, s[6:7] offset:40
	s_wait_loadcnt 0x0
	v_cmp_eq_f64_e32 vcc_lo, v[4:5], v[6:7]
	v_cndmask_b32_e64 v1, 0x44, 64, vcc_lo
	v_cmp_ngt_f64_e32 vcc_lo, v[4:5], v[6:7]
	v_mov_b64_e32 v[6:7], 0
	s_delay_alu instid0(VALU_DEP_3) | instskip(NEXT) | instid1(VALU_DEP_1)
	v_cndmask_b32_e32 v12, 60, v1, vcc_lo
	v_add_nc_u64_e32 v[4:5], s[4:5], v[12:13]
	s_wait_xcnt 0x0
	global_atomic_add_u32 v[4:5], v14, off scope:SCOPE_DEV
	s_wait_xcnt 0x0
	v_mov_b64_e32 v[4:5], 0
	s_cbranch_scc1 .LBB1_39
; %bb.37:
	global_load_u8 v1, v[2:3], off
	v_mov_b64_e32 v[4:5], 0
	v_mov_b64_e32 v[6:7], 0
	;; [unrolled: 1-line block ×3, first 2 shown]
	s_mov_b32 s15, 0
.LBB1_38:                               ; =>This Inner Loop Header: Depth=1
	s_wait_xcnt 0x0
	s_delay_alu instid0(VALU_DEP_1) | instskip(SKIP_3) | instid1(SALU_CYCLE_1)
	v_add_nc_u64_e32 v[8:9], s[14:15], v[8:9]
	s_wait_loadcnt 0x0
	v_and_b32_e32 v1, 0xff, v1
	s_add_nc_u64 s[0:1], s[0:1], -1
	s_cmp_lg_u64 s[0:1], 0
	global_load_u8 v14, v[8:9], off
	v_add_f64_e32 v[12:13], 1.0, v[6:7]
	s_wait_loadcnt 0x0
	v_and_b32_e32 v10, 0xffff, v14
	v_cmp_eq_u16_e32 vcc_lo, v1, v14
	s_delay_alu instid0(VALU_DEP_2) | instskip(SKIP_2) | instid1(VALU_DEP_3)
	v_mul_u32_u24_e32 v10, v10, v1
	v_mov_b32_e32 v1, v14
	v_dual_cndmask_b32 v6, v6, v12 :: v_dual_cndmask_b32 v7, v7, v13
	v_cvt_f64_u32_e32 v[10:11], v10
	s_delay_alu instid0(VALU_DEP_1)
	v_add_f64_e32 v[4:5], v[4:5], v[10:11]
	s_cbranch_scc1 .LBB1_38
.LBB1_39:
	s_wait_xcnt 0x0
	v_mov_b32_e32 v9, 0
	v_mov_b32_e32 v1, 0x64
	s_cmp_eq_u32 s13, 2
	global_load_b64 v[10:11], v9, s[6:7] offset:64
	s_wait_loadcnt 0x0
	v_cmp_eq_f64_e32 vcc_lo, v[6:7], v[10:11]
	v_cndmask_b32_e32 v1, 0x68, v1, vcc_lo
	v_cmp_ngt_f64_e32 vcc_lo, v[6:7], v[10:11]
	s_delay_alu instid0(VALU_DEP_2) | instskip(NEXT) | instid1(VALU_DEP_1)
	v_dual_cndmask_b32 v8, 0x60, v1 :: v_dual_mov_b32 v1, 1
	v_add_nc_u64_e32 v[6:7], s[4:5], v[8:9]
	v_mov_b32_e32 v8, 0xa0
	s_wait_xcnt 0x0
	global_atomic_add_u32 v[6:7], v1, off scope:SCOPE_DEV
	global_load_b64 v[6:7], v9, s[6:7] offset:104
	s_wait_loadcnt 0x0
	v_cmp_eq_f64_e32 vcc_lo, v[4:5], v[6:7]
	v_cndmask_b32_e32 v8, 0xa4, v8, vcc_lo
	v_cmp_ngt_f64_e32 vcc_lo, v[4:5], v[6:7]
	v_mov_b64_e32 v[6:7], 0
	s_delay_alu instid0(VALU_DEP_3) | instskip(NEXT) | instid1(VALU_DEP_1)
	v_cndmask_b32_e32 v8, 0x9c, v8, vcc_lo
	v_add_nc_u64_e32 v[4:5], s[4:5], v[8:9]
	s_wait_xcnt 0x0
	global_atomic_add_u32 v[4:5], v1, off scope:SCOPE_DEV
	s_wait_xcnt 0x0
	v_mov_b64_e32 v[4:5], 0
	s_cbranch_scc1 .LBB1_42
; %bb.40:
	v_mov_b64_e32 v[4:5], 0
	v_mov_b64_e32 v[6:7], 0
	v_mov_b64_e32 v[8:9], v[2:3]
	s_mov_b32 s1, 0
	s_add_co_i32 s0, s13, -2
	s_mov_b32 s15, s1
	s_delay_alu instid0(SALU_CYCLE_1)
	s_lshl_b64 s[2:3], s[14:15], 1
.LBB1_41:                               ; =>This Inner Loop Header: Depth=1
	s_delay_alu instid0(VALU_DEP_1) | instid1(SALU_CYCLE_1)
	v_add_nc_u64_e32 v[10:11], s[2:3], v[8:9]
	v_add_f64_e32 v[12:13], 1.0, v[6:7]
	s_add_nc_u64 s[0:1], s[0:1], -1
	s_clause 0x1
	global_load_u8 v1, v[8:9], off
	global_load_u8 v14, v[10:11], off
	s_wait_xcnt 0x1
	v_add_nc_u64_e32 v[8:9], s[14:15], v[8:9]
	s_cmp_lg_u64 s[0:1], 0
	s_wait_loadcnt 0x1
	s_wait_xcnt 0x0
	v_and_b32_e32 v10, 0xffff, v1
	s_wait_loadcnt 0x0
	v_and_b32_e32 v11, 0xff, v14
	v_cmp_eq_u16_e32 vcc_lo, v1, v14
	s_delay_alu instid0(VALU_DEP_2) | instskip(SKIP_1) | instid1(VALU_DEP_2)
	v_mul_u32_u24_e32 v10, v11, v10
	v_dual_cndmask_b32 v6, v6, v12 :: v_dual_cndmask_b32 v7, v7, v13
	v_cvt_f64_u32_e32 v[10:11], v10
	s_delay_alu instid0(VALU_DEP_1)
	v_add_f64_e32 v[4:5], v[4:5], v[10:11]
	s_cbranch_scc1 .LBB1_41
.LBB1_42:
	v_mov_b32_e32 v9, 0
	v_mov_b32_e32 v1, 0x70
	s_cmp_eq_u32 s13, 8
	global_load_b64 v[10:11], v9, s[6:7] offset:72
	s_wait_loadcnt 0x0
	v_cmp_eq_f64_e32 vcc_lo, v[6:7], v[10:11]
	v_cndmask_b32_e32 v1, 0x74, v1, vcc_lo
	v_cmp_ngt_f64_e32 vcc_lo, v[6:7], v[10:11]
	s_delay_alu instid0(VALU_DEP_2) | instskip(NEXT) | instid1(VALU_DEP_1)
	v_dual_cndmask_b32 v8, 0x6c, v1 :: v_dual_mov_b32 v1, 1
	v_add_nc_u64_e32 v[6:7], s[4:5], v[8:9]
	v_mov_b32_e32 v8, 0xac
	s_wait_xcnt 0x0
	global_atomic_add_u32 v[6:7], v1, off scope:SCOPE_DEV
	global_load_b64 v[6:7], v9, s[6:7] offset:112
	s_wait_loadcnt 0x0
	v_cmp_eq_f64_e32 vcc_lo, v[4:5], v[6:7]
	v_cndmask_b32_e32 v8, 0xb0, v8, vcc_lo
	v_cmp_ngt_f64_e32 vcc_lo, v[4:5], v[6:7]
	v_mov_b64_e32 v[6:7], 0
	s_delay_alu instid0(VALU_DEP_3) | instskip(NEXT) | instid1(VALU_DEP_1)
	v_cndmask_b32_e32 v8, 0xa8, v8, vcc_lo
	v_add_nc_u64_e32 v[4:5], s[4:5], v[8:9]
	s_wait_xcnt 0x0
	global_atomic_add_u32 v[4:5], v1, off scope:SCOPE_DEV
	s_wait_xcnt 0x0
	v_mov_b64_e32 v[4:5], 0
	s_cbranch_scc1 .LBB1_45
; %bb.43:
	v_mov_b64_e32 v[4:5], 0
	v_mov_b64_e32 v[6:7], 0
	v_mov_b64_e32 v[8:9], v[2:3]
	s_mov_b32 s1, 0
	s_add_co_i32 s0, s13, -8
	s_mov_b32 s15, s1
	s_delay_alu instid0(SALU_CYCLE_1)
	s_lshl_b64 s[2:3], s[14:15], 3
.LBB1_44:                               ; =>This Inner Loop Header: Depth=1
	s_delay_alu instid0(VALU_DEP_1) | instid1(SALU_CYCLE_1)
	v_add_nc_u64_e32 v[10:11], s[2:3], v[8:9]
	v_add_f64_e32 v[12:13], 1.0, v[6:7]
	s_add_nc_u64 s[0:1], s[0:1], -1
	s_clause 0x1
	global_load_u8 v1, v[8:9], off
	global_load_u8 v14, v[10:11], off
	s_wait_xcnt 0x1
	v_add_nc_u64_e32 v[8:9], s[14:15], v[8:9]
	s_cmp_lg_u64 s[0:1], 0
	s_wait_loadcnt 0x1
	s_wait_xcnt 0x0
	v_and_b32_e32 v10, 0xffff, v1
	s_wait_loadcnt 0x0
	v_and_b32_e32 v11, 0xff, v14
	v_cmp_eq_u16_e32 vcc_lo, v1, v14
	s_delay_alu instid0(VALU_DEP_2) | instskip(SKIP_1) | instid1(VALU_DEP_2)
	v_mul_u32_u24_e32 v10, v11, v10
	v_dual_cndmask_b32 v6, v6, v12 :: v_dual_cndmask_b32 v7, v7, v13
	v_cvt_f64_u32_e32 v[10:11], v10
	s_delay_alu instid0(VALU_DEP_1)
	v_add_f64_e32 v[4:5], v[4:5], v[10:11]
	s_cbranch_scc1 .LBB1_44
.LBB1_45:
	;; [unrolled: 62-line block ×3, first 2 shown]
	v_mov_b32_e32 v9, 0
	v_mov_b32_e32 v1, 0x88
	s_cmp_eq_u32 s13, 32
	global_load_b64 v[10:11], v9, s[6:7] offset:88
	s_wait_loadcnt 0x0
	v_cmp_eq_f64_e32 vcc_lo, v[6:7], v[10:11]
	v_cndmask_b32_e32 v1, 0x8c, v1, vcc_lo
	v_cmp_ngt_f64_e32 vcc_lo, v[6:7], v[10:11]
	s_delay_alu instid0(VALU_DEP_2) | instskip(NEXT) | instid1(VALU_DEP_1)
	v_dual_cndmask_b32 v8, 0x84, v1 :: v_dual_mov_b32 v1, 1
	v_add_nc_u64_e32 v[6:7], s[4:5], v[8:9]
	v_mov_b32_e32 v8, 0xc4
	s_wait_xcnt 0x0
	global_atomic_add_u32 v[6:7], v1, off scope:SCOPE_DEV
	global_load_b64 v[6:7], v9, s[6:7] offset:128
	s_wait_loadcnt 0x0
	v_cmp_eq_f64_e32 vcc_lo, v[4:5], v[6:7]
	v_cndmask_b32_e32 v8, 0xc8, v8, vcc_lo
	v_cmp_ngt_f64_e32 vcc_lo, v[4:5], v[6:7]
	v_mov_b64_e32 v[6:7], 0
	s_delay_alu instid0(VALU_DEP_3) | instskip(NEXT) | instid1(VALU_DEP_1)
	v_cndmask_b32_e32 v8, 0xc0, v8, vcc_lo
	v_add_nc_u64_e32 v[4:5], s[4:5], v[8:9]
	s_wait_xcnt 0x0
	global_atomic_add_u32 v[4:5], v1, off scope:SCOPE_DEV
	s_wait_xcnt 0x0
	v_mov_b64_e32 v[4:5], 0
	s_cbranch_scc1 .LBB1_51
; %bb.49:
	v_mov_b64_e32 v[4:5], 0
	v_mov_b64_e32 v[6:7], 0
	s_mov_b32 s1, 0
	s_sub_co_i32 s0, s13, 32
	s_mov_b32 s15, s1
	s_delay_alu instid0(SALU_CYCLE_1)
	s_lshl_b64 s[2:3], s[14:15], 5
.LBB1_50:                               ; =>This Inner Loop Header: Depth=1
	s_delay_alu instid0(SALU_CYCLE_1) | instskip(NEXT) | instid1(VALU_DEP_2)
	v_add_nc_u64_e32 v[8:9], s[2:3], v[2:3]
	v_add_f64_e32 v[10:11], 1.0, v[6:7]
	s_add_nc_u64 s[0:1], s[0:1], -1
	s_clause 0x1
	global_load_u8 v1, v[2:3], off
	global_load_u8 v12, v[8:9], off
	s_wait_xcnt 0x1
	v_add_nc_u64_e32 v[2:3], s[14:15], v[2:3]
	s_cmp_lg_u64 s[0:1], 0
	s_wait_loadcnt 0x1
	s_wait_xcnt 0x0
	v_and_b32_e32 v8, 0xffff, v1
	s_wait_loadcnt 0x0
	v_and_b32_e32 v9, 0xff, v12
	v_cmp_eq_u16_e32 vcc_lo, v1, v12
	s_delay_alu instid0(VALU_DEP_2) | instskip(SKIP_1) | instid1(VALU_DEP_2)
	v_mul_u32_u24_e32 v8, v9, v8
	v_dual_cndmask_b32 v6, v6, v10 :: v_dual_cndmask_b32 v7, v7, v11
	v_cvt_f64_u32_e32 v[8:9], v8
	s_delay_alu instid0(VALU_DEP_1)
	v_add_f64_e32 v[4:5], v[4:5], v[8:9]
	s_cbranch_scc1 .LBB1_50
.LBB1_51:
	v_mov_b32_e32 v9, 0
	v_mov_b32_e32 v1, 0x94
	s_mov_b32 s0, exec_lo
	global_load_b64 v[2:3], v9, s[6:7] offset:96
	s_wait_loadcnt 0x0
	v_cmp_eq_f64_e32 vcc_lo, v[6:7], v[2:3]
	v_cndmask_b32_e32 v1, 0x98, v1, vcc_lo
	v_cmp_ngt_f64_e32 vcc_lo, v[6:7], v[2:3]
	s_delay_alu instid0(VALU_DEP_2) | instskip(NEXT) | instid1(VALU_DEP_1)
	v_dual_cndmask_b32 v8, 0x90, v1 :: v_dual_mov_b32 v1, 1
	v_add_nc_u64_e32 v[2:3], s[4:5], v[8:9]
	s_wait_xcnt 0x0
	global_atomic_add_u32 v[2:3], v1, off scope:SCOPE_DEV
	global_load_b64 v[6:7], v9, s[6:7] offset:136
	s_wait_xcnt 0x1
	v_mov_b64_e32 v[2:3], 0xcc
	s_wait_loadcnt 0x0
	v_cmpx_ngt_f64_e32 v[4:5], v[6:7]
	s_cbranch_execz .LBB1_53
; %bb.52:
	v_cmp_eq_f64_e32 vcc_lo, v[4:5], v[6:7]
	v_mov_b32_e32 v1, 0xd0
	s_delay_alu instid0(VALU_DEP_1) | instskip(NEXT) | instid1(VALU_DEP_1)
	v_cndmask_b32_e32 v8, 0xd4, v1, vcc_lo
	v_mov_b64_e32 v[2:3], v[8:9]
.LBB1_53:
	s_or_b32 exec_lo, exec_lo, s0
	s_mov_b32 s0, -1
	s_and_b32 vcc_lo, exec_lo, s18
	s_cbranch_vccz .LBB1_28
.LBB1_54:
	s_mov_b32 s1, 0
	s_cmp_eq_u32 s13, 0
	s_mov_b32 s2, s1
	s_mov_b32 s3, s1
	;; [unrolled: 1-line block ×3, first 2 shown]
	v_mov_b64_e32 v[4:5], s[2:3]
	v_mov_b64_e32 v[2:3], s[0:1]
	s_clause 0xf
	scratch_store_b128 off, v[2:5], off offset:240
	scratch_store_b128 off, v[2:5], off offset:224
	;; [unrolled: 1-line block ×15, first 2 shown]
	scratch_store_b128 off, v[2:5], off
	s_cbranch_scc1 .LBB1_73
; %bb.55:
	v_dual_mov_b32 v1, 0 :: v_dual_mov_b32 v16, 1
	v_mov_b64_e32 v[6:7], 0
	s_wait_xcnt 0x0
	v_mov_b64_e32 v[2:3], 0
	v_mov_b64_e32 v[10:11], 0
	v_add_nc_u64_e32 v[4:5], s[16:17], v[0:1]
	v_mov_b64_e32 v[8:9], 0
	s_lshl_b32 s2, 1, s12
	v_dual_mov_b32 v0, v1 :: v_dual_mov_b32 v17, v1
	s_mov_b32 s3, s1
	s_cmp_gt_u32 s12, 2
	s_wait_kmcnt 0x0
	s_mov_b64 s[8:9], 0xfffffff8
	s_mov_b32 s0, s13
	s_cselect_b32 s12, -1, 0
	s_mov_b32 s15, s1
	s_and_b64 s[8:9], s[2:3], s[8:9]
	s_mov_b32 s13, s1
	s_branch .LBB1_58
.LBB1_56:                               ;   in Loop: Header=BB1_58 Depth=1
	s_or_b32 exec_lo, exec_lo, s11
.LBB1_57:                               ;   in Loop: Header=BB1_58 Depth=1
	s_delay_alu instid0(SALU_CYCLE_1) | instskip(SKIP_1) | instid1(VALU_DEP_1)
	s_or_b32 exec_lo, exec_lo, s10
	v_add_nc_u64_e32 v[8:9], 1, v[8:9]
	v_add_nc_u64_e32 v[12:13], v[10:11], v[8:9]
	s_delay_alu instid0(VALU_DEP_1) | instskip(SKIP_1) | instid1(SALU_CYCLE_1)
	v_cmp_le_u64_e32 vcc_lo, s[0:1], v[12:13]
	s_or_b32 s13, vcc_lo, s13
	s_and_not1_b32 exec_lo, exec_lo, s13
	s_cbranch_execz .LBB1_72
.LBB1_58:                               ; =>This Loop Header: Depth=1
                                        ;     Child Loop BB1_60 Depth 2
                                        ;     Child Loop BB1_64 Depth 2
	;; [unrolled: 1-line block ×3, first 2 shown]
	s_and_not1_b32 vcc_lo, exec_lo, s12
	s_mov_b32 s10, -1
	s_cbranch_vccnz .LBB1_62
; %bb.59:                               ;   in Loop: Header=BB1_58 Depth=1
	s_mov_b32 s16, 0
	s_mov_b64 s[10:11], s[8:9]
.LBB1_60:                               ;   Parent Loop BB1_58 Depth=1
                                        ; =>  This Inner Loop Header: Depth=2
	s_delay_alu instid0(SALU_CYCLE_1)
	s_add_nc_u64 s[10:11], s[10:11], -8
	scratch_store_b64 off, v[6:7], s16
	s_wait_xcnt 0x0
	s_add_co_i32 s16, s16, 8
	s_cmp_lg_u64 s[10:11], 0
	s_cbranch_scc1 .LBB1_60
; %bb.61:                               ;   in Loop: Header=BB1_58 Depth=1
	s_mov_b32 s10, 0
.LBB1_62:                               ;   in Loop: Header=BB1_58 Depth=1
	s_delay_alu instid0(SALU_CYCLE_1)
	s_and_b32 vcc_lo, exec_lo, s10
	s_cbranch_vccz .LBB1_65
; %bb.63:                               ;   in Loop: Header=BB1_58 Depth=1
	s_mov_b32 s16, 0
	s_mov_b64 s[10:11], s[2:3]
.LBB1_64:                               ;   Parent Loop BB1_58 Depth=1
                                        ; =>  This Inner Loop Header: Depth=2
	s_delay_alu instid0(SALU_CYCLE_1)
	s_add_nc_u64 s[10:11], s[10:11], -1
	scratch_store_b8 off, v1, s16
	s_wait_xcnt 0x0
	s_add_co_i32 s16, s16, 1
	s_cmp_eq_u64 s[10:11], 0
	s_cbranch_scc0 .LBB1_64
.LBB1_65:                               ;   in Loop: Header=BB1_58 Depth=1
	v_add_nc_u64_e32 v[12:13], v[8:9], v[10:11]
	s_mov_b32 s10, exec_lo
	s_delay_alu instid0(VALU_DEP_1)
	v_cmpx_gt_u64_e64 s[0:1], v[12:13]
	s_cbranch_execz .LBB1_57
; %bb.66:                               ;   in Loop: Header=BB1_58 Depth=1
	v_mad_nc_u64_u32 v[14:15], s14, v12, v[4:5]
	s_mov_b32 s16, 0
                                        ; implicit-def: $sgpr11
                                        ; implicit-def: $sgpr18
                                        ; implicit-def: $sgpr17
	s_delay_alu instid0(VALU_DEP_1)
	v_mad_u32 v15, s14, v13, v15
	s_branch .LBB1_68
.LBB1_67:                               ;   in Loop: Header=BB1_68 Depth=2
	s_wait_xcnt 0x0
	s_or_b32 exec_lo, exec_lo, s19
	s_delay_alu instid0(SALU_CYCLE_1) | instskip(NEXT) | instid1(SALU_CYCLE_1)
	s_and_b32 s19, exec_lo, s18
	s_or_b32 s16, s19, s16
	s_and_not1_b32 s11, s11, exec_lo
	s_and_b32 s19, s17, exec_lo
	s_delay_alu instid0(SALU_CYCLE_1)
	s_or_b32 s11, s11, s19
	s_and_not1_b32 exec_lo, exec_lo, s16
	s_cbranch_execz .LBB1_70
.LBB1_68:                               ;   Parent Loop BB1_58 Depth=1
                                        ; =>  This Inner Loop Header: Depth=2
	global_load_u8 v18, v[14:15], off
	s_or_b32 s17, s17, exec_lo
	s_or_b32 s18, s18, exec_lo
	s_wait_loadcnt 0x0
	scratch_load_u8 v12, v18, off
	s_wait_loadcnt 0x0
	v_and_b32_e32 v12, 1, v12
	s_delay_alu instid0(VALU_DEP_1)
	v_cmp_eq_u32_e32 vcc_lo, 1, v12
	v_mov_b64_e32 v[12:13], v[10:11]
                                        ; implicit-def: $vgpr10_vgpr11
	s_xor_b32 s20, vcc_lo, -1
	s_wait_xcnt 0x0
	s_and_saveexec_b32 s19, s20
	s_cbranch_execz .LBB1_67
; %bb.69:                               ;   in Loop: Header=BB1_68 Depth=2
	s_delay_alu instid0(VALU_DEP_1)
	v_add_nc_u64_e32 v[10:11], 1, v[12:13]
	v_add_nc_u64_e32 v[14:15], s[14:15], v[14:15]
	s_and_not1_b32 s18, s18, exec_lo
	s_and_not1_b32 s17, s17, exec_lo
	scratch_store_b8 v18, v16, off
	v_add_nc_u64_e32 v[20:21], v[8:9], v[10:11]
	s_delay_alu instid0(VALU_DEP_1) | instskip(SKIP_1) | instid1(SALU_CYCLE_1)
	v_cmp_le_u64_e32 vcc_lo, s[0:1], v[20:21]
	s_and_b32 s20, vcc_lo, exec_lo
	s_or_b32 s18, s18, s20
	s_branch .LBB1_67
.LBB1_70:                               ;   in Loop: Header=BB1_58 Depth=1
	s_or_b32 exec_lo, exec_lo, s16
	s_and_saveexec_b32 s16, s11
	s_delay_alu instid0(SALU_CYCLE_1)
	s_xor_b32 s11, exec_lo, s16
	s_cbranch_execz .LBB1_56
; %bb.71:                               ;   in Loop: Header=BB1_58 Depth=1
	v_cvt_f64_u32_e32 v[10:11], v13
	v_cvt_f64_u32_e32 v[14:15], v12
	v_add_nc_u64_e32 v[8:9], v[8:9], v[12:13]
	v_add_nc_u32_e32 v17, 1, v17
	s_delay_alu instid0(VALU_DEP_4) | instskip(NEXT) | instid1(VALU_DEP_1)
	v_ldexp_f64 v[10:11], v[10:11], 32
	v_add_f64_e32 v[10:11], v[10:11], v[14:15]
	v_max_u64 v[14:15], v[12:13], v[0:1]
	s_delay_alu instid0(VALU_DEP_2) | instskip(SKIP_1) | instid1(VALU_DEP_3)
	v_add_f64_e32 v[2:3], v[2:3], v[10:11]
	v_mov_b64_e32 v[10:11], 0
	v_mov_b32_e32 v0, v14
	s_branch .LBB1_56
.LBB1_72:
	s_or_b32 exec_lo, exec_lo, s13
	v_cvt_f64_u32_e32 v[4:5], v17
	v_cvt_f64_u32_e32 v[0:1], v0
	s_delay_alu instid0(VALU_DEP_2) | instskip(SKIP_1) | instid1(VALU_DEP_2)
	v_div_scale_f64 v[6:7], null, v[4:5], v[4:5], v[2:3]
	v_div_scale_f64 v[12:13], vcc_lo, v[2:3], v[4:5], v[2:3]
	v_rcp_f64_e32 v[8:9], v[6:7]
	v_nop
	s_delay_alu instid0(TRANS32_DEP_1) | instskip(NEXT) | instid1(VALU_DEP_1)
	v_fma_f64 v[10:11], -v[6:7], v[8:9], 1.0
	v_fmac_f64_e32 v[8:9], v[8:9], v[10:11]
	s_delay_alu instid0(VALU_DEP_1) | instskip(NEXT) | instid1(VALU_DEP_1)
	v_fma_f64 v[10:11], -v[6:7], v[8:9], 1.0
	v_fmac_f64_e32 v[8:9], v[8:9], v[10:11]
	s_delay_alu instid0(VALU_DEP_1) | instskip(NEXT) | instid1(VALU_DEP_1)
	v_mul_f64_e32 v[10:11], v[12:13], v[8:9]
	v_fma_f64 v[6:7], -v[6:7], v[10:11], v[12:13]
	s_delay_alu instid0(VALU_DEP_1) | instskip(NEXT) | instid1(VALU_DEP_1)
	v_div_fmas_f64 v[6:7], v[6:7], v[8:9], v[10:11]
	v_div_fixup_f64 v[2:3], v[6:7], v[4:5], v[2:3]
	s_branch .LBB1_74
.LBB1_73:
	v_mov_b64_e32 v[0:1], 0
	s_wait_xcnt 0x0
	v_mov_b64_e32 v[2:3], 0x7ff8000000000000
.LBB1_74:
	v_dual_mov_b32 v5, 0 :: v_dual_mov_b32 v4, 0x4c
	s_mov_b32 s0, exec_lo
	s_wait_kmcnt 0x0
	global_load_b64 v[6:7], v5, s[6:7] offset:48
	s_wait_loadcnt 0x0
	v_cmp_eq_f64_e32 vcc_lo, v[2:3], v[6:7]
	v_cndmask_b32_e32 v4, 0x50, v4, vcc_lo
	v_cmp_ngt_f64_e32 vcc_lo, v[2:3], v[6:7]
	s_delay_alu instid0(VALU_DEP_2) | instskip(NEXT) | instid1(VALU_DEP_1)
	v_cndmask_b32_e32 v4, 0x48, v4, vcc_lo
	v_add_nc_u64_e32 v[2:3], s[4:5], v[4:5]
	v_mov_b32_e32 v4, 1
	s_wait_xcnt 0x0
	global_atomic_add_u32 v[2:3], v4, off scope:SCOPE_DEV
	global_load_b64 v[6:7], v5, s[6:7] offset:56
	s_wait_xcnt 0x1
	v_mov_b64_e32 v[2:3], 0x54
	s_wait_loadcnt 0x0
	v_cmpx_ngt_f64_e32 v[0:1], v[6:7]
	s_cbranch_execz .LBB1_76
; %bb.75:
	v_cmp_eq_f64_e32 vcc_lo, v[0:1], v[6:7]
	v_mov_b32_e32 v2, 0x58
	s_delay_alu instid0(VALU_DEP_1) | instskip(NEXT) | instid1(VALU_DEP_1)
	v_cndmask_b32_e32 v4, 0x5c, v2, vcc_lo
	v_mov_b64_e32 v[2:3], v[4:5]
.LBB1_76:
	s_or_b32 exec_lo, exec_lo, s0
	s_cbranch_execz .LBB1_29
.LBB1_77:
	s_wait_kmcnt 0x0
	s_delay_alu instid0(VALU_DEP_1)
	v_add_nc_u64_e32 v[0:1], s[4:5], v[2:3]
	v_mov_b32_e32 v2, 1
	global_atomic_add_u32 v[0:1], v2, off scope:SCOPE_DEV
	s_endpgm
	.section	.rodata,"a",@progbits
	.p2align	6, 0x0
	.amdhsa_kernel _Z24statistical_tests_kernelPjPKdddPKhjjjj
		.amdhsa_group_segment_fixed_size 0
		.amdhsa_private_segment_fixed_size 272
		.amdhsa_kernarg_size 312
		.amdhsa_user_sgpr_count 2
		.amdhsa_user_sgpr_dispatch_ptr 0
		.amdhsa_user_sgpr_queue_ptr 0
		.amdhsa_user_sgpr_kernarg_segment_ptr 1
		.amdhsa_user_sgpr_dispatch_id 0
		.amdhsa_user_sgpr_kernarg_preload_length 0
		.amdhsa_user_sgpr_kernarg_preload_offset 0
		.amdhsa_user_sgpr_private_segment_size 0
		.amdhsa_wavefront_size32 1
		.amdhsa_uses_dynamic_stack 0
		.amdhsa_enable_private_segment 1
		.amdhsa_system_sgpr_workgroup_id_x 1
		.amdhsa_system_sgpr_workgroup_id_y 0
		.amdhsa_system_sgpr_workgroup_id_z 0
		.amdhsa_system_sgpr_workgroup_info 0
		.amdhsa_system_vgpr_workitem_id 0
		.amdhsa_next_free_vgpr 22
		.amdhsa_next_free_sgpr 24
		.amdhsa_named_barrier_count 0
		.amdhsa_reserve_vcc 1
		.amdhsa_float_round_mode_32 0
		.amdhsa_float_round_mode_16_64 0
		.amdhsa_float_denorm_mode_32 3
		.amdhsa_float_denorm_mode_16_64 3
		.amdhsa_fp16_overflow 0
		.amdhsa_memory_ordered 1
		.amdhsa_forward_progress 1
		.amdhsa_inst_pref_size 33
		.amdhsa_round_robin_scheduling 0
		.amdhsa_exception_fp_ieee_invalid_op 0
		.amdhsa_exception_fp_denorm_src 0
		.amdhsa_exception_fp_ieee_div_zero 0
		.amdhsa_exception_fp_ieee_overflow 0
		.amdhsa_exception_fp_ieee_underflow 0
		.amdhsa_exception_fp_ieee_inexact 0
		.amdhsa_exception_int_div_zero 0
	.end_amdhsa_kernel
	.text
.Lfunc_end1:
	.size	_Z24statistical_tests_kernelPjPKdddPKhjjjj, .Lfunc_end1-_Z24statistical_tests_kernelPjPKdddPKhjjjj
                                        ; -- End function
	.set _Z24statistical_tests_kernelPjPKdddPKhjjjj.num_vgpr, 22
	.set _Z24statistical_tests_kernelPjPKdddPKhjjjj.num_agpr, 0
	.set _Z24statistical_tests_kernelPjPKdddPKhjjjj.numbered_sgpr, 24
	.set _Z24statistical_tests_kernelPjPKdddPKhjjjj.num_named_barrier, 0
	.set _Z24statistical_tests_kernelPjPKdddPKhjjjj.private_seg_size, 272
	.set _Z24statistical_tests_kernelPjPKdddPKhjjjj.uses_vcc, 1
	.set _Z24statistical_tests_kernelPjPKdddPKhjjjj.uses_flat_scratch, 1
	.set _Z24statistical_tests_kernelPjPKdddPKhjjjj.has_dyn_sized_stack, 0
	.set _Z24statistical_tests_kernelPjPKdddPKhjjjj.has_recursion, 0
	.set _Z24statistical_tests_kernelPjPKdddPKhjjjj.has_indirect_call, 0
	.section	.AMDGPU.csdata,"",@progbits
; Kernel info:
; codeLenInByte = 4124
; TotalNumSgprs: 26
; NumVgprs: 22
; ScratchSize: 272
; MemoryBound: 0
; FloatMode: 240
; IeeeMode: 1
; LDSByteSize: 0 bytes/workgroup (compile time only)
; SGPRBlocks: 0
; VGPRBlocks: 1
; NumSGPRsForWavesPerEU: 26
; NumVGPRsForWavesPerEU: 22
; NamedBarCnt: 0
; Occupancy: 16
; WaveLimiterHint : 0
; COMPUTE_PGM_RSRC2:SCRATCH_EN: 1
; COMPUTE_PGM_RSRC2:USER_SGPR: 2
; COMPUTE_PGM_RSRC2:TRAP_HANDLER: 0
; COMPUTE_PGM_RSRC2:TGID_X_EN: 1
; COMPUTE_PGM_RSRC2:TGID_Y_EN: 0
; COMPUTE_PGM_RSRC2:TGID_Z_EN: 0
; COMPUTE_PGM_RSRC2:TIDIG_COMP_CNT: 0
	.text
	.protected	_Z23binary_shuffling_kernelPhS_PKhjjj ; -- Begin function _Z23binary_shuffling_kernelPhS_PKhjjj
	.globl	_Z23binary_shuffling_kernelPhS_PKhjjj
	.p2align	8
	.type	_Z23binary_shuffling_kernelPhS_PKhjjj,@function
_Z23binary_shuffling_kernelPhS_PKhjjj:  ; @_Z23binary_shuffling_kernelPhS_PKhjjj
; %bb.0:
	s_clause 0x3
	s_load_b32 s11, s[0:1], 0x34
	s_load_b96 s[8:10], s[0:1], 0x18
	s_load_b128 s[4:7], s[0:1], 0x0
	s_load_b64 s[2:3], s[0:1], 0x10
	s_wait_xcnt 0x0
	s_bfe_u32 s0, ttmp6, 0x4000c
	s_and_b32 s1, ttmp6, 15
	s_add_co_i32 s0, s0, 1
	s_getreg_b32 s12, hwreg(HW_REG_IB_STS2, 6, 4)
	s_mul_i32 s0, ttmp9, s0
	s_delay_alu instid0(SALU_CYCLE_1)
	s_add_co_i32 s1, s1, s0
	s_wait_kmcnt 0x0
	s_and_b32 s11, s11, 0xffff
	s_cmp_eq_u32 s12, 0
	s_cselect_b32 s0, ttmp9, s1
	s_cmp_eq_u32 s8, 0
	s_mul_i32 s0, s0, s11
	s_delay_alu instid0(SALU_CYCLE_1)
	v_add_nc_u32_e32 v1, s0, v0
	s_cbranch_scc1 .LBB2_4
; %bb.1:
	s_delay_alu instid0(VALU_DEP_1)
	v_dual_mov_b32 v3, 0 :: v_dual_mov_b32 v4, v1
	v_mov_b32_e32 v2, 0
	s_mov_b32 s1, s8
.LBB2_2:                                ; =>This Inner Loop Header: Depth=1
	global_load_u8 v5, v3, s[2:3]
	s_add_co_i32 s1, s1, -1
	s_wait_xcnt 0x0
	s_add_nc_u64 s[2:3], s[2:3], 1
	s_cmp_lg_u32 s1, 0
	s_wait_loadcnt 0x0
	v_and_b32_e32 v6, 0xff, v5
	global_store_b8 v4, v5, s[4:5]
	s_wait_xcnt 0x0
	v_dual_add_nc_u32 v4, s10, v4 :: v_dual_add_nc_u32 v2, v2, v6
	s_cbranch_scc1 .LBB2_2
; %bb.3:
	s_add_co_i32 s1, s8, -1
	s_delay_alu instid0(SALU_CYCLE_1)
	s_cmp_eq_u32 s1, 0
	s_cbranch_scc0 .LBB2_5
	s_branch .LBB2_7
.LBB2_4:
	v_mov_b32_e32 v2, 0
	s_add_co_i32 s1, s8, -1
	s_delay_alu instid0(SALU_CYCLE_1)
	s_cmp_eq_u32 s1, 0
	s_cbranch_scc1 .LBB2_7
.LBB2_5:
	s_mul_i32 s2, s10, s1
	s_sub_co_i32 s3, 1, s8
	s_delay_alu instid0(SALU_CYCLE_1)
	v_dual_mov_b32 v4, s3 :: v_dual_bitop2_b32 v2, v2, v1 bitop3:0x14
	v_add3_u32 v3, s0, s2, v0
.LBB2_6:                                ; =>This Inner Loop Header: Depth=1
	s_cvt_f32_u32 s2, s1
	s_delay_alu instid0(VALU_DEP_2) | instskip(NEXT) | instid1(SALU_CYCLE_2)
	v_mad_u32 v2, 0xe48e2825, v2, 1
	v_rcp_iflag_f32_e32 v5, s2
	v_nop
	s_delay_alu instid0(TRANS32_DEP_1) | instskip(NEXT) | instid1(VALU_DEP_1)
	v_mul_f32_e32 v5, 0x4f7ffffe, v5
	v_cvt_u32_f32_e32 v5, v5
	s_delay_alu instid0(VALU_DEP_1) | instskip(NEXT) | instid1(VALU_DEP_1)
	v_mul_lo_u32 v6, v4, v5
	v_mul_hi_u32 v6, v5, v6
	s_delay_alu instid0(VALU_DEP_1) | instskip(NEXT) | instid1(VALU_DEP_1)
	v_add_nc_u32_e32 v5, v5, v6
	v_mul_hi_u32 v5, v2, v5
	s_delay_alu instid0(VALU_DEP_1) | instskip(NEXT) | instid1(VALU_DEP_1)
	v_mul_lo_u32 v5, v5, s1
	v_sub_nc_u32_e32 v5, v2, v5
	s_delay_alu instid0(VALU_DEP_1) | instskip(SKIP_1) | instid1(VALU_DEP_2)
	v_subrev_nc_u32_e32 v6, s1, v5
	v_cmp_le_u32_e32 vcc_lo, s1, v5
	v_cndmask_b32_e32 v5, v5, v6, vcc_lo
	s_delay_alu instid0(VALU_DEP_1)
	v_add_nc_u32_e32 v6, v5, v4
	v_cmp_le_u32_e32 vcc_lo, s1, v5
	v_add_co_u32 v4, s2, v4, 1
	s_add_co_i32 s1, s1, -1
	v_cndmask_b32_e32 v5, v5, v6, vcc_lo
	s_and_b32 vcc_lo, exec_lo, s2
	s_delay_alu instid0(VALU_DEP_1)
	v_mad_u32 v5, v5, s10, v1
	s_clause 0x1
	global_load_u8 v6, v3, s[4:5]
	global_load_u8 v7, v5, s[4:5]
	s_wait_loadcnt 0x1
	global_store_b8 v5, v6, s[4:5]
	s_wait_loadcnt 0x0
	global_store_b8 v3, v7, s[4:5]
	s_wait_xcnt 0x0
	v_subrev_nc_u32_e32 v3, s10, v3
	s_cbranch_vccz .LBB2_6
.LBB2_7:
	s_cmp_eq_u32 s9, 0
	s_cbranch_scc1 .LBB2_10
; %bb.8:
	v_mad_u32 v1, s10, 3, v0
	v_mad_u32 v2, s10, 5, v0
	;; [unrolled: 1-line block ×4, first 2 shown]
	v_dual_mov_b32 v8, v0 :: v_dual_add_nc_u32 v5, s10, v0
	v_lshl_add_u32 v6, s10, 1, v0
	v_lshl_add_u32 v7, s10, 2, v0
	s_lshl_b32 s1, s10, 3
.LBB2_9:                                ; =>This Inner Loop Header: Depth=1
	s_wait_xcnt 0x0
	v_dual_add_nc_u32 v9, s0, v0 :: v_dual_add_nc_u32 v10, s0, v5
	v_dual_add_nc_u32 v11, s0, v6 :: v_dual_add_nc_u32 v12, s0, v1
	;; [unrolled: 1-line block ×3, first 2 shown]
	s_clause 0x5
	global_load_u8 v16, v9, s[4:5]
	global_load_u8 v17, v10, s[4:5]
	;; [unrolled: 1-line block ×6, first 2 shown]
	s_wait_xcnt 0x5
	v_dual_add_nc_u32 v15, s0, v3 :: v_dual_add_nc_u32 v9, s0, v4
	s_clause 0x1
	global_load_u8 v10, v15, s[4:5]
	global_load_u8 v11, v9, s[4:5]
	s_wait_xcnt 0x0
	v_dual_add_nc_u32 v9, s0, v8 :: v_dual_add_nc_u32 v8, s10, v8
	v_add_nc_u32_e32 v4, s1, v4
	v_add_nc_u32_e32 v0, s1, v0
	s_add_co_i32 s9, s9, -1
	v_add_nc_u32_e32 v5, s1, v5
	s_cmp_lg_u32 s9, 0
	v_dual_add_nc_u32 v6, s1, v6 :: v_dual_add_nc_u32 v1, s1, v1
	v_dual_add_nc_u32 v2, s1, v2 :: v_dual_add_nc_u32 v7, s1, v7
	v_add_nc_u32_e32 v3, s1, v3
	s_wait_loadcnt 0x7
	v_lshlrev_b16 v12, 7, v16
	s_wait_loadcnt 0x6
	v_lshlrev_b16 v13, 6, v17
	;; [unrolled: 2-line block ×6, first 2 shown]
	v_bitop3_b16 v12, v13, v12, 64 bitop3:0xec
	v_and_b32_e32 v13, 32, v14
	v_and_b32_e32 v14, 16, v15
	;; [unrolled: 1-line block ×3, first 2 shown]
	s_wait_loadcnt 0x1
	v_lshlrev_b16 v10, 1, v10
	v_and_b32_e32 v16, 4, v17
	s_wait_loadcnt 0x0
	v_and_b32_e32 v11, 1, v11
	v_bitop3_b16 v12, v12, v14, v13 bitop3:0xfe
	v_and_b32_e32 v10, 2, v10
	s_delay_alu instid0(VALU_DEP_2) | instskip(NEXT) | instid1(VALU_DEP_1)
	v_bitop3_b16 v12, v12, v16, v15 bitop3:0xfe
	v_bitop3_b16 v10, v12, v11, v10 bitop3:0x36
	global_store_b8 v9, v10, s[6:7]
	s_cbranch_scc1 .LBB2_9
.LBB2_10:
	s_endpgm
	.section	.rodata,"a",@progbits
	.p2align	6, 0x0
	.amdhsa_kernel _Z23binary_shuffling_kernelPhS_PKhjjj
		.amdhsa_group_segment_fixed_size 0
		.amdhsa_private_segment_fixed_size 0
		.amdhsa_kernarg_size 296
		.amdhsa_user_sgpr_count 2
		.amdhsa_user_sgpr_dispatch_ptr 0
		.amdhsa_user_sgpr_queue_ptr 0
		.amdhsa_user_sgpr_kernarg_segment_ptr 1
		.amdhsa_user_sgpr_dispatch_id 0
		.amdhsa_user_sgpr_kernarg_preload_length 0
		.amdhsa_user_sgpr_kernarg_preload_offset 0
		.amdhsa_user_sgpr_private_segment_size 0
		.amdhsa_wavefront_size32 1
		.amdhsa_uses_dynamic_stack 0
		.amdhsa_enable_private_segment 0
		.amdhsa_system_sgpr_workgroup_id_x 1
		.amdhsa_system_sgpr_workgroup_id_y 0
		.amdhsa_system_sgpr_workgroup_id_z 0
		.amdhsa_system_sgpr_workgroup_info 0
		.amdhsa_system_vgpr_workitem_id 0
		.amdhsa_next_free_vgpr 22
		.amdhsa_next_free_sgpr 13
		.amdhsa_named_barrier_count 0
		.amdhsa_reserve_vcc 1
		.amdhsa_float_round_mode_32 0
		.amdhsa_float_round_mode_16_64 0
		.amdhsa_float_denorm_mode_32 3
		.amdhsa_float_denorm_mode_16_64 3
		.amdhsa_fp16_overflow 0
		.amdhsa_memory_ordered 1
		.amdhsa_forward_progress 1
		.amdhsa_inst_pref_size 8
		.amdhsa_round_robin_scheduling 0
		.amdhsa_exception_fp_ieee_invalid_op 0
		.amdhsa_exception_fp_denorm_src 0
		.amdhsa_exception_fp_ieee_div_zero 0
		.amdhsa_exception_fp_ieee_overflow 0
		.amdhsa_exception_fp_ieee_underflow 0
		.amdhsa_exception_fp_ieee_inexact 0
		.amdhsa_exception_int_div_zero 0
	.end_amdhsa_kernel
	.text
.Lfunc_end2:
	.size	_Z23binary_shuffling_kernelPhS_PKhjjj, .Lfunc_end2-_Z23binary_shuffling_kernelPhS_PKhjjj
                                        ; -- End function
	.set _Z23binary_shuffling_kernelPhS_PKhjjj.num_vgpr, 22
	.set _Z23binary_shuffling_kernelPhS_PKhjjj.num_agpr, 0
	.set _Z23binary_shuffling_kernelPhS_PKhjjj.numbered_sgpr, 13
	.set _Z23binary_shuffling_kernelPhS_PKhjjj.num_named_barrier, 0
	.set _Z23binary_shuffling_kernelPhS_PKhjjj.private_seg_size, 0
	.set _Z23binary_shuffling_kernelPhS_PKhjjj.uses_vcc, 1
	.set _Z23binary_shuffling_kernelPhS_PKhjjj.uses_flat_scratch, 0
	.set _Z23binary_shuffling_kernelPhS_PKhjjj.has_dyn_sized_stack, 0
	.set _Z23binary_shuffling_kernelPhS_PKhjjj.has_recursion, 0
	.set _Z23binary_shuffling_kernelPhS_PKhjjj.has_indirect_call, 0
	.section	.AMDGPU.csdata,"",@progbits
; Kernel info:
; codeLenInByte = 964
; TotalNumSgprs: 15
; NumVgprs: 22
; ScratchSize: 0
; MemoryBound: 0
; FloatMode: 240
; IeeeMode: 1
; LDSByteSize: 0 bytes/workgroup (compile time only)
; SGPRBlocks: 0
; VGPRBlocks: 1
; NumSGPRsForWavesPerEU: 15
; NumVGPRsForWavesPerEU: 22
; NamedBarCnt: 0
; Occupancy: 16
; WaveLimiterHint : 0
; COMPUTE_PGM_RSRC2:SCRATCH_EN: 0
; COMPUTE_PGM_RSRC2:USER_SGPR: 2
; COMPUTE_PGM_RSRC2:TRAP_HANDLER: 0
; COMPUTE_PGM_RSRC2:TGID_X_EN: 1
; COMPUTE_PGM_RSRC2:TGID_Y_EN: 0
; COMPUTE_PGM_RSRC2:TGID_Z_EN: 0
; COMPUTE_PGM_RSRC2:TIDIG_COMP_CNT: 0
	.text
	.protected	_Z31binary_statistical_tests_kernelPjPKdddPKhS3_jjjjj ; -- Begin function _Z31binary_statistical_tests_kernelPjPKdddPKhS3_jjjjj
	.globl	_Z31binary_statistical_tests_kernelPjPKdddPKhS3_jjjjj
	.p2align	8
	.type	_Z31binary_statistical_tests_kernelPjPKdddPKhS3_jjjjj,@function
_Z31binary_statistical_tests_kernelPjPKdddPKhS3_jjjjj: ; @_Z31binary_statistical_tests_kernelPjPKdddPKhS3_jjjjj
; %bb.0:
	s_clause 0x1
	s_load_b128 s[12:15], s[0:1], 0x34
	s_load_b128 s[16:19], s[0:1], 0x20
	s_bfe_u32 s4, ttmp6, 0x4000c
	s_and_b32 s3, ttmp6, 15
	s_add_co_i32 s4, s4, 1
	s_getreg_b32 s5, hwreg(HW_REG_IB_STS2, 6, 4)
	s_mul_i32 s4, ttmp9, s4
	s_load_b32 s20, s[0:1], 0x54
	s_add_co_i32 s3, s3, s4
	s_wait_kmcnt 0x0
	s_cvt_f32_u32 s2, s15
	s_sub_co_i32 s6, 0, s15
	s_delay_alu instid0(SALU_CYCLE_2) | instskip(SKIP_1) | instid1(TRANS32_DEP_1)
	v_rcp_iflag_f32_e32 v1, s2
	v_nop
	v_readfirstlane_b32 s2, v1
	s_mul_f32 s2, s2, 0x4f7ffffe
	s_delay_alu instid0(SALU_CYCLE_3) | instskip(NEXT) | instid1(SALU_CYCLE_3)
	s_cvt_u32_f32 s2, s2
	s_mul_i32 s6, s6, s2
	s_delay_alu instid0(SALU_CYCLE_1) | instskip(NEXT) | instid1(SALU_CYCLE_1)
	s_mul_hi_u32 s6, s2, s6
	s_add_co_i32 s2, s2, s6
	s_cmp_eq_u32 s5, 0
	s_cselect_b32 s3, ttmp9, s3
	s_delay_alu instid0(SALU_CYCLE_1) | instskip(NEXT) | instid1(SALU_CYCLE_1)
	s_mul_hi_u32 s2, s3, s2
	s_mul_i32 s4, s2, s15
	s_add_co_i32 s22, s2, 1
	s_sub_co_i32 s21, s3, s4
	s_load_b256 s[4:11], s[0:1], 0x0
	s_sub_co_i32 s23, s21, s15
	s_cmp_ge_u32 s21, s15
	s_wait_xcnt 0x0
	s_cselect_b32 s0, s22, s2
	s_cselect_b32 s1, s23, s21
	s_add_co_i32 s2, s0, 1
	s_cmp_ge_u32 s1, s15
	s_cselect_b32 s21, s2, s0
	s_and_b32 s1, s20, 0xffff
	s_mul_i32 s0, s21, s15
	s_delay_alu instid0(SALU_CYCLE_1)
	s_sub_co_i32 s0, s3, s0
	s_cmp_le_u32 s15, s3
	s_mul_i32 s20, s0, s1
	s_mov_b32 s1, 0
	v_add_nc_u32_e32 v6, s20, v0
	s_cbranch_scc0 .LBB3_36
; %bb.1:
	s_cmp_lt_i32 s21, 2
	s_cbranch_scc1 .LBB3_37
; %bb.2:
	s_cmp_gt_i32 s21, 2
	s_cbranch_scc0 .LBB3_38
; %bb.3:
	s_mov_b32 s0, 0
	s_cmp_eq_u32 s21, 3
                                        ; implicit-def: $vgpr2_vgpr3
	s_cbranch_scc0 .LBB3_24
; %bb.4:
	v_mov_b64_e32 v[2:3], 0
	v_mov_b64_e32 v[4:5], 0
	s_cmp_eq_u32 s13, 1
	s_cbranch_scc1 .LBB3_7
; %bb.5:
	global_load_u8 v1, v6, s[18:19]
	v_mov_b64_e32 v[2:3], 0
	v_mov_b64_e32 v[4:5], 0
	v_mov_b32_e32 v7, v6
	s_add_co_i32 s1, s13, -1
.LBB3_6:                                ; =>This Inner Loop Header: Depth=1
	s_wait_loadcnt 0x0
	s_delay_alu instid0(VALU_DEP_1)
	v_dual_add_nc_u32 v7, s14, v7 :: v_dual_bitop2_b32 v15, 1, v1 bitop3:0x40
	v_lshrrev_b16 v8, 7, v1
	v_lshrrev_b16 v9, 6, v1
	;; [unrolled: 1-line block ×7, first 2 shown]
	global_load_u8 v1, v7, s[18:19]
	v_and_b32_e32 v8, 1, v8
	v_and_b32_e32 v9, 1, v9
	;; [unrolled: 1-line block ×5, first 2 shown]
	v_add_nc_u16 v8, v15, v8
	v_and_b32_e32 v13, 1, v13
	s_add_co_i32 s1, s1, -1
	s_delay_alu instid0(SALU_CYCLE_1) | instskip(NEXT) | instid1(VALU_DEP_2)
	s_cmp_lg_u32 s1, 0
	v_add_nc_u16 v8, v8, v9
	s_delay_alu instid0(VALU_DEP_1) | instskip(NEXT) | instid1(VALU_DEP_1)
	v_add_nc_u16 v8, v8, v10
	v_add_nc_u16 v8, v8, v11
	s_delay_alu instid0(VALU_DEP_1) | instskip(NEXT) | instid1(VALU_DEP_1)
	v_add_nc_u16 v8, v8, v12
	v_add_nc_u16 v8, v8, v13
	s_wait_loadcnt 0x0
	v_lshrrev_b16 v16, 7, v1
	v_lshrrev_b16 v17, 6, v1
	v_and_b32_e32 v18, 1, v1
	v_lshrrev_b16 v15, 5, v1
	v_lshrrev_b16 v9, 4, v1
	;; [unrolled: 1-line block ×3, first 2 shown]
	v_and_b32_e32 v17, 1, v17
	v_add_nc_u16 v16, v18, v16
	v_and_b32_e32 v15, 1, v15
	v_and_b32_e32 v9, 1, v9
	v_lshrrev_b16 v11, 2, v1
	v_and_b32_e32 v10, 1, v10
	v_add_nc_u16 v16, v16, v17
	v_lshrrev_b16 v12, 1, v1
	s_delay_alu instid0(VALU_DEP_4) | instskip(NEXT) | instid1(VALU_DEP_3)
	v_and_b32_e32 v11, 1, v11
	v_add_nc_u16 v15, v16, v15
	s_delay_alu instid0(VALU_DEP_3) | instskip(NEXT) | instid1(VALU_DEP_2)
	v_and_b32_e32 v12, 1, v12
	v_add_nc_u16 v9, v15, v9
	s_delay_alu instid0(VALU_DEP_1) | instskip(SKIP_1) | instid1(VALU_DEP_2)
	v_add_nc_u16 v9, v9, v10
	v_and_b32_e32 v10, 1, v14
	v_add_nc_u16 v9, v9, v11
	s_delay_alu instid0(VALU_DEP_2) | instskip(SKIP_1) | instid1(VALU_DEP_3)
	v_add_nc_u16 v13, v8, v10
	v_add_f64_e32 v[10:11], 1.0, v[4:5]
	v_add_nc_u16 v12, v9, v12
	s_delay_alu instid0(VALU_DEP_1) | instskip(NEXT) | instid1(VALU_DEP_1)
	v_mul_lo_u16 v8, v12, v13
	v_and_b32_e32 v8, 0xff, v8
	s_delay_alu instid0(VALU_DEP_1) | instskip(NEXT) | instid1(VALU_DEP_1)
	v_and_b32_e32 v8, 0xffff, v8
	v_cvt_f64_u32_e32 v[8:9], v8
	s_delay_alu instid0(VALU_DEP_1) | instskip(SKIP_2) | instid1(VALU_DEP_1)
	v_add_f64_e32 v[2:3], v[2:3], v[8:9]
	v_and_b32_e32 v8, 0xff, v13
	v_and_b32_e32 v9, 0xff, v12
	v_cmp_eq_u16_e32 vcc_lo, v8, v9
	v_dual_cndmask_b32 v5, v5, v11 :: v_dual_cndmask_b32 v4, v4, v10
	s_cbranch_scc1 .LBB3_6
.LBB3_7:
	s_wait_kmcnt 0x0
	s_load_b64 s[2:3], s[6:7], 0x40
	v_mov_b32_e32 v1, 0x64
	v_mov_b32_e32 v7, 0xa0
	s_cmp_eq_u32 s13, 2
	s_wait_kmcnt 0x0
	v_cmp_eq_f64_e32 vcc_lo, s[2:3], v[4:5]
	v_cndmask_b32_e32 v1, 0x68, v1, vcc_lo
	v_cmp_nlt_f64_e32 vcc_lo, s[2:3], v[4:5]
	s_delay_alu instid0(VALU_DEP_2) | instskip(SKIP_1) | instid1(VALU_DEP_2)
	v_dual_mov_b32 v9, 0 :: v_dual_cndmask_b32 v8, 0x60, v1
	v_mov_b32_e32 v1, 1
	v_add_nc_u64_e32 v[4:5], s[4:5], v[8:9]
	global_atomic_add_u32 v[4:5], v1, off scope:SCOPE_DEV
	global_load_b64 v[4:5], v9, s[6:7] offset:104
	s_wait_loadcnt 0x0
	v_cmp_eq_f64_e32 vcc_lo, v[2:3], v[4:5]
	v_cndmask_b32_e32 v7, 0xa4, v7, vcc_lo
	v_cmp_ngt_f64_e32 vcc_lo, v[2:3], v[4:5]
	v_mov_b64_e32 v[4:5], 0
	s_delay_alu instid0(VALU_DEP_3) | instskip(NEXT) | instid1(VALU_DEP_1)
	v_cndmask_b32_e32 v8, 0x9c, v7, vcc_lo
	v_add_nc_u64_e32 v[2:3], s[4:5], v[8:9]
	s_wait_xcnt 0x0
	global_atomic_add_u32 v[2:3], v1, off scope:SCOPE_DEV
	s_wait_xcnt 0x0
	v_mov_b64_e32 v[2:3], 0
	s_cbranch_scc1 .LBB3_10
; %bb.8:
	v_mov_b64_e32 v[2:3], 0
	v_mov_b64_e32 v[4:5], 0
	v_mov_b32_e32 v1, v6
	s_lshl_b32 s1, s14, 1
	s_add_co_i32 s2, s13, -2
.LBB3_9:                                ; =>This Inner Loop Header: Depth=1
	s_delay_alu instid0(VALU_DEP_1)
	v_add_nc_u32_e32 v7, s1, v1
	s_add_co_i32 s2, s2, -1
	s_clause 0x1
	global_load_u8 v8, v1, s[18:19]
	global_load_u8 v9, v7, s[18:19]
	s_cmp_lg_u32 s2, 0
	s_wait_xcnt 0x1
	v_add_nc_u32_e32 v1, s14, v1
	s_wait_loadcnt 0x1
	s_wait_xcnt 0x0
	v_lshrrev_b16 v7, 7, v8
	v_lshrrev_b16 v10, 6, v8
	v_lshrrev_b16 v11, 5, v8
	v_lshrrev_b16 v12, 4, v8
	v_lshrrev_b16 v13, 3, v8
	v_lshrrev_b16 v14, 2, v8
	v_lshrrev_b16 v15, 1, v8
	v_and_b32_e32 v8, 1, v8
	s_wait_loadcnt 0x0
	v_lshrrev_b16 v16, 7, v9
	v_lshrrev_b16 v17, 6, v9
	v_and_b32_e32 v18, 1, v9
	v_and_b32_e32 v10, 1, v10
	v_add_nc_u16 v7, v8, v7
	v_lshrrev_b16 v8, 5, v9
	v_and_b32_e32 v17, 1, v17
	v_add_nc_u16 v16, v18, v16
	v_and_b32_e32 v11, 1, v11
	v_lshrrev_b16 v18, 4, v9
	v_add_nc_u16 v7, v7, v10
	v_and_b32_e32 v8, 1, v8
	v_add_nc_u16 v10, v16, v17
	v_and_b32_e32 v12, 1, v12
	v_lshrrev_b16 v16, 3, v9
	v_and_b32_e32 v17, 1, v18
	v_add_nc_u16 v7, v7, v11
	v_add_nc_u16 v8, v10, v8
	v_and_b32_e32 v10, 1, v13
	v_lshrrev_b16 v11, 2, v9
	v_and_b32_e32 v13, 1, v16
	v_add_nc_u16 v7, v7, v12
	;; [unrolled: 5-line block ×3, first 2 shown]
	v_add_nc_u16 v8, v8, v13
	v_and_b32_e32 v10, 1, v15
	v_and_b32_e32 v9, 1, v9
	s_delay_alu instid0(VALU_DEP_4) | instskip(NEXT) | instid1(VALU_DEP_4)
	v_add_nc_u16 v7, v7, v12
	v_add_nc_u16 v8, v8, v11
	s_delay_alu instid0(VALU_DEP_2) | instskip(NEXT) | instid1(VALU_DEP_2)
	v_add_nc_u16 v7, v7, v10
	v_add_nc_u16 v12, v8, v9
	v_add_f64_e32 v[10:11], 1.0, v[4:5]
	s_delay_alu instid0(VALU_DEP_2) | instskip(SKIP_1) | instid1(VALU_DEP_2)
	v_mul_lo_u16 v8, v12, v7
	v_and_b32_e32 v7, 0xff, v7
	v_and_b32_e32 v8, 0xff, v8
	s_delay_alu instid0(VALU_DEP_1) | instskip(NEXT) | instid1(VALU_DEP_1)
	v_and_b32_e32 v8, 0xffff, v8
	v_cvt_f64_u32_e32 v[8:9], v8
	s_delay_alu instid0(VALU_DEP_1) | instskip(SKIP_1) | instid1(VALU_DEP_1)
	v_add_f64_e32 v[2:3], v[2:3], v[8:9]
	v_and_b32_e32 v8, 0xff, v12
	v_cmp_eq_u16_e32 vcc_lo, v7, v8
	v_dual_cndmask_b32 v5, v5, v11 :: v_dual_cndmask_b32 v4, v4, v10
	s_cbranch_scc1 .LBB3_9
.LBB3_10:
	v_mov_b32_e32 v9, 0
	v_mov_b32_e32 v1, 0x70
	;; [unrolled: 1-line block ×3, first 2 shown]
	s_cmp_eq_u32 s13, 8
	global_load_b64 v[10:11], v9, s[6:7] offset:72
	s_wait_loadcnt 0x0
	v_cmp_eq_f64_e32 vcc_lo, v[4:5], v[10:11]
	v_cndmask_b32_e32 v1, 0x74, v1, vcc_lo
	v_cmp_ngt_f64_e32 vcc_lo, v[4:5], v[10:11]
	s_delay_alu instid0(VALU_DEP_2) | instskip(NEXT) | instid1(VALU_DEP_1)
	v_dual_cndmask_b32 v8, 0x6c, v1 :: v_dual_mov_b32 v1, 1
	v_add_nc_u64_e32 v[4:5], s[4:5], v[8:9]
	s_wait_xcnt 0x0
	global_atomic_add_u32 v[4:5], v1, off scope:SCOPE_DEV
	global_load_b64 v[4:5], v9, s[6:7] offset:112
	s_wait_loadcnt 0x0
	v_cmp_eq_f64_e32 vcc_lo, v[2:3], v[4:5]
	v_cndmask_b32_e32 v7, 0xb0, v7, vcc_lo
	v_cmp_ngt_f64_e32 vcc_lo, v[2:3], v[4:5]
	v_mov_b64_e32 v[4:5], 0
	s_delay_alu instid0(VALU_DEP_3) | instskip(NEXT) | instid1(VALU_DEP_1)
	v_cndmask_b32_e32 v8, 0xa8, v7, vcc_lo
	v_add_nc_u64_e32 v[2:3], s[4:5], v[8:9]
	s_wait_xcnt 0x0
	global_atomic_add_u32 v[2:3], v1, off scope:SCOPE_DEV
	s_wait_xcnt 0x0
	v_mov_b64_e32 v[2:3], 0
	s_cbranch_scc1 .LBB3_13
; %bb.11:
	v_mov_b64_e32 v[2:3], 0
	v_mov_b64_e32 v[4:5], 0
	v_mov_b32_e32 v1, v6
	s_lshl_b32 s1, s14, 3
	s_add_co_i32 s2, s13, -8
.LBB3_12:                               ; =>This Inner Loop Header: Depth=1
	s_delay_alu instid0(VALU_DEP_1)
	v_add_nc_u32_e32 v7, s1, v1
	s_add_co_i32 s2, s2, -1
	s_clause 0x1
	global_load_u8 v8, v1, s[18:19]
	global_load_u8 v9, v7, s[18:19]
	s_cmp_lg_u32 s2, 0
	s_wait_xcnt 0x1
	v_add_nc_u32_e32 v1, s14, v1
	s_wait_loadcnt 0x1
	s_wait_xcnt 0x0
	v_lshrrev_b16 v7, 7, v8
	v_lshrrev_b16 v10, 6, v8
	;; [unrolled: 1-line block ×7, first 2 shown]
	v_and_b32_e32 v8, 1, v8
	s_wait_loadcnt 0x0
	v_lshrrev_b16 v16, 7, v9
	v_lshrrev_b16 v17, 6, v9
	v_and_b32_e32 v18, 1, v9
	v_and_b32_e32 v10, 1, v10
	v_add_nc_u16 v7, v8, v7
	v_lshrrev_b16 v8, 5, v9
	v_and_b32_e32 v17, 1, v17
	v_add_nc_u16 v16, v18, v16
	v_and_b32_e32 v11, 1, v11
	v_lshrrev_b16 v18, 4, v9
	v_add_nc_u16 v7, v7, v10
	v_and_b32_e32 v8, 1, v8
	v_add_nc_u16 v10, v16, v17
	v_and_b32_e32 v12, 1, v12
	v_lshrrev_b16 v16, 3, v9
	v_and_b32_e32 v17, 1, v18
	v_add_nc_u16 v7, v7, v11
	v_add_nc_u16 v8, v10, v8
	v_and_b32_e32 v10, 1, v13
	v_lshrrev_b16 v11, 2, v9
	v_and_b32_e32 v13, 1, v16
	v_add_nc_u16 v7, v7, v12
	;; [unrolled: 5-line block ×3, first 2 shown]
	v_add_nc_u16 v8, v8, v13
	v_and_b32_e32 v10, 1, v15
	v_and_b32_e32 v9, 1, v9
	s_delay_alu instid0(VALU_DEP_4) | instskip(NEXT) | instid1(VALU_DEP_4)
	v_add_nc_u16 v7, v7, v12
	v_add_nc_u16 v8, v8, v11
	s_delay_alu instid0(VALU_DEP_2) | instskip(NEXT) | instid1(VALU_DEP_2)
	v_add_nc_u16 v7, v7, v10
	v_add_nc_u16 v12, v8, v9
	v_add_f64_e32 v[10:11], 1.0, v[4:5]
	s_delay_alu instid0(VALU_DEP_2) | instskip(SKIP_1) | instid1(VALU_DEP_2)
	v_mul_lo_u16 v8, v12, v7
	v_and_b32_e32 v7, 0xff, v7
	v_and_b32_e32 v8, 0xff, v8
	s_delay_alu instid0(VALU_DEP_1) | instskip(NEXT) | instid1(VALU_DEP_1)
	v_and_b32_e32 v8, 0xffff, v8
	v_cvt_f64_u32_e32 v[8:9], v8
	s_delay_alu instid0(VALU_DEP_1) | instskip(SKIP_1) | instid1(VALU_DEP_1)
	v_add_f64_e32 v[2:3], v[2:3], v[8:9]
	v_and_b32_e32 v8, 0xff, v12
	v_cmp_eq_u16_e32 vcc_lo, v7, v8
	v_dual_cndmask_b32 v5, v5, v11 :: v_dual_cndmask_b32 v4, v4, v10
	s_cbranch_scc1 .LBB3_12
.LBB3_13:
	v_mov_b32_e32 v9, 0
	v_mov_b32_e32 v1, 0x7c
	;; [unrolled: 1-line block ×3, first 2 shown]
	s_cmp_eq_u32 s13, 16
	global_load_b64 v[10:11], v9, s[6:7] offset:80
	s_wait_loadcnt 0x0
	v_cmp_eq_f64_e32 vcc_lo, v[4:5], v[10:11]
	v_cndmask_b32_e32 v1, 0x80, v1, vcc_lo
	v_cmp_ngt_f64_e32 vcc_lo, v[4:5], v[10:11]
	s_delay_alu instid0(VALU_DEP_2) | instskip(NEXT) | instid1(VALU_DEP_1)
	v_dual_cndmask_b32 v8, 0x78, v1 :: v_dual_mov_b32 v1, 1
	v_add_nc_u64_e32 v[4:5], s[4:5], v[8:9]
	s_wait_xcnt 0x0
	global_atomic_add_u32 v[4:5], v1, off scope:SCOPE_DEV
	global_load_b64 v[4:5], v9, s[6:7] offset:120
	s_wait_loadcnt 0x0
	v_cmp_eq_f64_e32 vcc_lo, v[2:3], v[4:5]
	v_cndmask_b32_e32 v7, 0xbc, v7, vcc_lo
	v_cmp_ngt_f64_e32 vcc_lo, v[2:3], v[4:5]
	v_mov_b64_e32 v[4:5], 0
	s_delay_alu instid0(VALU_DEP_3) | instskip(NEXT) | instid1(VALU_DEP_1)
	v_cndmask_b32_e32 v8, 0xb4, v7, vcc_lo
	v_add_nc_u64_e32 v[2:3], s[4:5], v[8:9]
	s_wait_xcnt 0x0
	global_atomic_add_u32 v[2:3], v1, off scope:SCOPE_DEV
	s_wait_xcnt 0x0
	v_mov_b64_e32 v[2:3], 0
	s_cbranch_scc1 .LBB3_16
; %bb.14:
	v_mov_b64_e32 v[2:3], 0
	v_mov_b64_e32 v[4:5], 0
	v_mov_b32_e32 v1, v6
	s_lshl_b32 s1, s14, 4
	s_add_co_i32 s2, s13, -16
.LBB3_15:                               ; =>This Inner Loop Header: Depth=1
	s_delay_alu instid0(VALU_DEP_1)
	v_add_nc_u32_e32 v7, s1, v1
	s_add_co_i32 s2, s2, -1
	s_clause 0x1
	global_load_u8 v8, v1, s[18:19]
	global_load_u8 v9, v7, s[18:19]
	s_cmp_lg_u32 s2, 0
	s_wait_xcnt 0x1
	v_add_nc_u32_e32 v1, s14, v1
	s_wait_loadcnt 0x1
	s_wait_xcnt 0x0
	v_lshrrev_b16 v7, 7, v8
	v_lshrrev_b16 v10, 6, v8
	;; [unrolled: 1-line block ×7, first 2 shown]
	v_and_b32_e32 v8, 1, v8
	s_wait_loadcnt 0x0
	v_lshrrev_b16 v16, 7, v9
	v_lshrrev_b16 v17, 6, v9
	v_and_b32_e32 v18, 1, v9
	v_and_b32_e32 v10, 1, v10
	v_add_nc_u16 v7, v8, v7
	v_lshrrev_b16 v8, 5, v9
	v_and_b32_e32 v17, 1, v17
	v_add_nc_u16 v16, v18, v16
	v_and_b32_e32 v11, 1, v11
	v_lshrrev_b16 v18, 4, v9
	v_add_nc_u16 v7, v7, v10
	v_and_b32_e32 v8, 1, v8
	v_add_nc_u16 v10, v16, v17
	v_and_b32_e32 v12, 1, v12
	v_lshrrev_b16 v16, 3, v9
	v_and_b32_e32 v17, 1, v18
	v_add_nc_u16 v7, v7, v11
	v_add_nc_u16 v8, v10, v8
	v_and_b32_e32 v10, 1, v13
	v_lshrrev_b16 v11, 2, v9
	v_and_b32_e32 v13, 1, v16
	v_add_nc_u16 v7, v7, v12
	;; [unrolled: 5-line block ×3, first 2 shown]
	v_add_nc_u16 v8, v8, v13
	v_and_b32_e32 v10, 1, v15
	v_and_b32_e32 v9, 1, v9
	s_delay_alu instid0(VALU_DEP_4) | instskip(NEXT) | instid1(VALU_DEP_4)
	v_add_nc_u16 v7, v7, v12
	v_add_nc_u16 v8, v8, v11
	s_delay_alu instid0(VALU_DEP_2) | instskip(NEXT) | instid1(VALU_DEP_2)
	v_add_nc_u16 v7, v7, v10
	v_add_nc_u16 v12, v8, v9
	v_add_f64_e32 v[10:11], 1.0, v[4:5]
	s_delay_alu instid0(VALU_DEP_2) | instskip(SKIP_1) | instid1(VALU_DEP_2)
	v_mul_lo_u16 v8, v12, v7
	v_and_b32_e32 v7, 0xff, v7
	v_and_b32_e32 v8, 0xff, v8
	s_delay_alu instid0(VALU_DEP_1) | instskip(NEXT) | instid1(VALU_DEP_1)
	v_and_b32_e32 v8, 0xffff, v8
	v_cvt_f64_u32_e32 v[8:9], v8
	s_delay_alu instid0(VALU_DEP_1) | instskip(SKIP_1) | instid1(VALU_DEP_1)
	v_add_f64_e32 v[2:3], v[2:3], v[8:9]
	v_and_b32_e32 v8, 0xff, v12
	v_cmp_eq_u16_e32 vcc_lo, v7, v8
	v_dual_cndmask_b32 v5, v5, v11 :: v_dual_cndmask_b32 v4, v4, v10
	s_cbranch_scc1 .LBB3_15
.LBB3_16:
	v_mov_b32_e32 v9, 0
	v_mov_b32_e32 v1, 0x88
	;; [unrolled: 1-line block ×3, first 2 shown]
	s_cmp_eq_u32 s13, 32
	global_load_b64 v[10:11], v9, s[6:7] offset:88
	s_wait_loadcnt 0x0
	v_cmp_eq_f64_e32 vcc_lo, v[4:5], v[10:11]
	v_cndmask_b32_e32 v1, 0x8c, v1, vcc_lo
	v_cmp_ngt_f64_e32 vcc_lo, v[4:5], v[10:11]
	s_delay_alu instid0(VALU_DEP_2) | instskip(NEXT) | instid1(VALU_DEP_1)
	v_dual_cndmask_b32 v8, 0x84, v1 :: v_dual_mov_b32 v1, 1
	v_add_nc_u64_e32 v[4:5], s[4:5], v[8:9]
	s_wait_xcnt 0x0
	global_atomic_add_u32 v[4:5], v1, off scope:SCOPE_DEV
	global_load_b64 v[4:5], v9, s[6:7] offset:128
	s_wait_loadcnt 0x0
	v_cmp_eq_f64_e32 vcc_lo, v[2:3], v[4:5]
	v_cndmask_b32_e32 v7, 0xc8, v7, vcc_lo
	v_cmp_ngt_f64_e32 vcc_lo, v[2:3], v[4:5]
	v_mov_b64_e32 v[4:5], 0
	s_delay_alu instid0(VALU_DEP_3) | instskip(NEXT) | instid1(VALU_DEP_1)
	v_cndmask_b32_e32 v8, 0xc0, v7, vcc_lo
	v_add_nc_u64_e32 v[2:3], s[4:5], v[8:9]
	s_wait_xcnt 0x0
	global_atomic_add_u32 v[2:3], v1, off scope:SCOPE_DEV
	s_wait_xcnt 0x0
	v_mov_b64_e32 v[2:3], 0
	s_cbranch_scc1 .LBB3_19
; %bb.17:
	v_mov_b64_e32 v[4:5], 0
	v_mov_b64_e32 v[2:3], 0
	v_mov_b32_e32 v1, v6
	s_lshl_b32 s1, s14, 5
	s_sub_co_i32 s2, s13, 32
.LBB3_18:                               ; =>This Inner Loop Header: Depth=1
	s_delay_alu instid0(VALU_DEP_1)
	v_add_nc_u32_e32 v7, s1, v1
	s_add_co_i32 s2, s2, -1
	s_clause 0x1
	global_load_u8 v8, v1, s[18:19]
	global_load_u8 v9, v7, s[18:19]
	s_cmp_lg_u32 s2, 0
	s_wait_xcnt 0x1
	v_add_nc_u32_e32 v1, s14, v1
	s_wait_loadcnt 0x1
	s_wait_xcnt 0x0
	v_lshrrev_b16 v7, 7, v8
	v_lshrrev_b16 v10, 6, v8
	;; [unrolled: 1-line block ×7, first 2 shown]
	v_and_b32_e32 v8, 1, v8
	s_wait_loadcnt 0x0
	v_lshrrev_b16 v16, 7, v9
	v_lshrrev_b16 v17, 6, v9
	v_and_b32_e32 v18, 1, v9
	v_and_b32_e32 v10, 1, v10
	v_add_nc_u16 v7, v8, v7
	v_lshrrev_b16 v8, 5, v9
	v_and_b32_e32 v17, 1, v17
	v_add_nc_u16 v16, v18, v16
	v_and_b32_e32 v11, 1, v11
	v_lshrrev_b16 v18, 4, v9
	v_add_nc_u16 v7, v7, v10
	v_and_b32_e32 v8, 1, v8
	v_add_nc_u16 v10, v16, v17
	v_and_b32_e32 v12, 1, v12
	v_lshrrev_b16 v16, 3, v9
	v_and_b32_e32 v17, 1, v18
	v_add_nc_u16 v7, v7, v11
	v_add_nc_u16 v8, v10, v8
	v_and_b32_e32 v10, 1, v13
	v_lshrrev_b16 v11, 2, v9
	v_and_b32_e32 v13, 1, v16
	v_add_nc_u16 v7, v7, v12
	;; [unrolled: 5-line block ×3, first 2 shown]
	v_add_nc_u16 v8, v8, v13
	v_and_b32_e32 v10, 1, v15
	v_and_b32_e32 v9, 1, v9
	s_delay_alu instid0(VALU_DEP_4) | instskip(NEXT) | instid1(VALU_DEP_4)
	v_add_nc_u16 v7, v7, v12
	v_add_nc_u16 v8, v8, v11
	s_delay_alu instid0(VALU_DEP_2) | instskip(NEXT) | instid1(VALU_DEP_2)
	v_add_nc_u16 v7, v7, v10
	v_add_nc_u16 v12, v8, v9
	v_add_f64_e32 v[10:11], 1.0, v[2:3]
	s_delay_alu instid0(VALU_DEP_2) | instskip(SKIP_1) | instid1(VALU_DEP_2)
	v_mul_lo_u16 v8, v12, v7
	v_and_b32_e32 v7, 0xff, v7
	v_and_b32_e32 v8, 0xff, v8
	s_delay_alu instid0(VALU_DEP_1) | instskip(NEXT) | instid1(VALU_DEP_1)
	v_and_b32_e32 v8, 0xffff, v8
	v_cvt_f64_u32_e32 v[8:9], v8
	s_delay_alu instid0(VALU_DEP_1) | instskip(SKIP_1) | instid1(VALU_DEP_1)
	v_add_f64_e32 v[4:5], v[4:5], v[8:9]
	v_and_b32_e32 v8, 0xff, v12
	v_cmp_eq_u16_e32 vcc_lo, v7, v8
	v_dual_cndmask_b32 v3, v3, v11 :: v_dual_cndmask_b32 v2, v2, v10
	s_cbranch_scc1 .LBB3_18
.LBB3_19:
	v_mov_b32_e32 v9, 0
	v_mov_b32_e32 v1, 0x94
	s_add_nc_u64 s[2:3], s[4:5], 0xcc
	s_mov_b32 s1, exec_lo
	global_load_b64 v[10:11], v9, s[6:7] offset:96
	s_wait_loadcnt 0x0
	v_cmp_eq_f64_e32 vcc_lo, v[2:3], v[10:11]
	v_cndmask_b32_e32 v1, 0x98, v1, vcc_lo
	v_cmp_ngt_f64_e32 vcc_lo, v[2:3], v[10:11]
	s_delay_alu instid0(VALU_DEP_2) | instskip(NEXT) | instid1(VALU_DEP_1)
	v_dual_cndmask_b32 v8, 0x90, v1 :: v_dual_mov_b32 v1, 1
	v_add_nc_u64_e32 v[2:3], s[4:5], v[8:9]
	s_wait_xcnt 0x0
	global_atomic_add_u32 v[2:3], v1, off scope:SCOPE_DEV
	global_load_b64 v[8:9], v9, s[6:7] offset:136
	s_wait_xcnt 0x1
	v_mov_b64_e32 v[2:3], s[2:3]
	s_wait_loadcnt 0x0
	v_cmpx_ngt_f64_e32 v[4:5], v[8:9]
	s_xor_b32 s1, exec_lo, s1
	s_cbranch_execz .LBB3_23
; %bb.20:
	s_add_nc_u64 s[2:3], s[4:5], 0xd0
	s_delay_alu instid0(SALU_CYCLE_1)
	v_mov_b64_e32 v[2:3], s[2:3]
	s_mov_b32 s2, exec_lo
	v_cmpx_neq_f64_e32 v[4:5], v[8:9]
	s_xor_b32 s2, exec_lo, s2
; %bb.21:
	s_add_nc_u64 s[22:23], s[4:5], 0xd4
	s_delay_alu instid0(SALU_CYCLE_1)
	v_mov_b64_e32 v[2:3], s[22:23]
; %bb.22:
	s_and_not1_saveexec_b32 s2, s2
	s_delay_alu instid0(SALU_CYCLE_1)
	s_or_b32 exec_lo, exec_lo, s2
.LBB3_23:
	s_and_not1_saveexec_b32 s1, s1
	s_delay_alu instid0(SALU_CYCLE_1)
	s_or_b32 exec_lo, exec_lo, s1
	s_mov_b32 s1, -1
.LBB3_24:
	s_and_b32 vcc_lo, exec_lo, s0
	s_cbranch_vccz .LBB3_39
.LBB3_25:
	s_mov_b32 s0, 0
	s_cmp_eq_u32 s13, 0
	s_mov_b32 s2, s0
	s_mov_b32 s3, s0
	;; [unrolled: 1-line block ×3, first 2 shown]
	v_mov_b64_e32 v[4:5], s[2:3]
	v_mov_b64_e32 v[2:3], s[0:1]
	s_clause 0xa
	scratch_store_b128 off, v[2:5], off offset:240
	scratch_store_b128 off, v[2:5], off offset:224
	;; [unrolled: 1-line block ×11, first 2 shown]
	s_cbranch_scc1 .LBB3_41
; %bb.26:
	v_dual_mov_b32 v9, 0 :: v_dual_mov_b32 v1, 1
	s_wait_xcnt 0x0
	v_mov_b64_e32 v[4:5], s[2:3]
	v_mov_b64_e32 v[16:17], 0
	;; [unrolled: 1-line block ×3, first 2 shown]
	v_dual_mov_b32 v7, v9 :: v_dual_mov_b32 v8, v9
	v_mov_b64_e32 v[2:3], s[0:1]
	v_mov_b64_e32 v[14:15], 0
	s_mov_b32 s2, s13
	s_delay_alu instid0(VALU_DEP_3)
	v_add_nc_u64_e32 v[12:13], s[18:19], v[6:7]
	s_mov_b32 s3, s0
	s_mov_b32 s15, s0
	s_branch .LBB3_29
.LBB3_27:                               ;   in Loop: Header=BB3_29 Depth=1
	s_or_b32 exec_lo, exec_lo, s22
.LBB3_28:                               ;   in Loop: Header=BB3_29 Depth=1
	s_delay_alu instid0(SALU_CYCLE_1) | instskip(SKIP_1) | instid1(VALU_DEP_1)
	s_or_b32 exec_lo, exec_lo, s1
	v_add_nc_u64_e32 v[14:15], 1, v[14:15]
	v_add_nc_u64_e32 v[18:19], v[16:17], v[14:15]
	s_delay_alu instid0(VALU_DEP_1) | instskip(SKIP_1) | instid1(SALU_CYCLE_1)
	v_cmp_le_u64_e32 vcc_lo, s[2:3], v[18:19]
	s_or_b32 s0, vcc_lo, s0
	s_and_not1_b32 exec_lo, exec_lo, s0
	s_cbranch_execz .LBB3_40
.LBB3_29:                               ; =>This Loop Header: Depth=1
                                        ;     Child Loop BB3_32 Depth 2
	s_delay_alu instid0(VALU_DEP_2)
	v_add_nc_u64_e32 v[18:19], v[14:15], v[16:17]
	s_mov_b32 s1, exec_lo
	s_clause 0xf
	scratch_store_b128 off, v[2:5], off
	scratch_store_b128 off, v[2:5], off offset:16
	scratch_store_b128 off, v[2:5], off offset:32
	;; [unrolled: 1-line block ×15, first 2 shown]
	s_wait_xcnt 0x0
	v_cmpx_gt_u64_e64 s[2:3], v[18:19]
	s_cbranch_execz .LBB3_28
; %bb.30:                               ;   in Loop: Header=BB3_29 Depth=1
	v_mad_nc_u64_u32 v[20:21], s14, v18, v[12:13]
	s_mov_b32 s23, 0
                                        ; implicit-def: $sgpr22
                                        ; implicit-def: $sgpr25
                                        ; implicit-def: $sgpr24
	s_delay_alu instid0(VALU_DEP_1)
	v_mad_u32 v21, s14, v19, v21
	s_branch .LBB3_32
.LBB3_31:                               ;   in Loop: Header=BB3_32 Depth=2
	s_wait_xcnt 0x0
	s_or_b32 exec_lo, exec_lo, s26
	s_delay_alu instid0(SALU_CYCLE_1) | instskip(NEXT) | instid1(SALU_CYCLE_1)
	s_and_b32 s26, exec_lo, s25
	s_or_b32 s23, s26, s23
	s_and_not1_b32 s22, s22, exec_lo
	s_and_b32 s26, s24, exec_lo
	s_delay_alu instid0(SALU_CYCLE_1)
	s_or_b32 s22, s22, s26
	s_and_not1_b32 exec_lo, exec_lo, s23
	s_cbranch_execz .LBB3_34
.LBB3_32:                               ;   Parent Loop BB3_29 Depth=1
                                        ; =>  This Inner Loop Header: Depth=2
	global_load_u8 v22, v[20:21], off
	s_or_b32 s24, s24, exec_lo
	s_or_b32 s25, s25, exec_lo
	s_wait_loadcnt 0x0
	scratch_load_u8 v18, v22, off
	s_wait_loadcnt 0x0
	v_and_b32_e32 v18, 1, v18
	s_delay_alu instid0(VALU_DEP_1)
	v_cmp_eq_u32_e32 vcc_lo, 1, v18
	v_mov_b64_e32 v[18:19], v[16:17]
                                        ; implicit-def: $vgpr16_vgpr17
	s_xor_b32 s27, vcc_lo, -1
	s_wait_xcnt 0x0
	s_and_saveexec_b32 s26, s27
	s_cbranch_execz .LBB3_31
; %bb.33:                               ;   in Loop: Header=BB3_32 Depth=2
	s_delay_alu instid0(VALU_DEP_1)
	v_add_nc_u64_e32 v[16:17], 1, v[18:19]
	v_add_nc_u64_e32 v[20:21], s[14:15], v[20:21]
	s_and_not1_b32 s25, s25, exec_lo
	s_and_not1_b32 s24, s24, exec_lo
	scratch_store_b8 v22, v1, off
	v_add_nc_u64_e32 v[24:25], v[14:15], v[16:17]
	s_delay_alu instid0(VALU_DEP_1) | instskip(SKIP_1) | instid1(SALU_CYCLE_1)
	v_cmp_le_u64_e32 vcc_lo, s[2:3], v[24:25]
	s_and_b32 s27, vcc_lo, exec_lo
	s_or_b32 s25, s25, s27
	s_branch .LBB3_31
.LBB3_34:                               ;   in Loop: Header=BB3_29 Depth=1
	s_or_b32 exec_lo, exec_lo, s23
	s_and_saveexec_b32 s23, s22
	s_delay_alu instid0(SALU_CYCLE_1)
	s_xor_b32 s22, exec_lo, s23
	s_cbranch_execz .LBB3_27
; %bb.35:                               ;   in Loop: Header=BB3_29 Depth=1
	v_cvt_f64_u32_e32 v[16:17], v19
	v_cvt_f64_u32_e32 v[20:21], v18
	v_add_nc_u64_e32 v[14:15], v[14:15], v[18:19]
	v_add_nc_u32_e32 v7, 1, v7
	s_delay_alu instid0(VALU_DEP_4) | instskip(NEXT) | instid1(VALU_DEP_1)
	v_ldexp_f64 v[16:17], v[16:17], 32
	v_add_f64_e32 v[16:17], v[16:17], v[20:21]
	v_max_u64 v[20:21], v[18:19], v[8:9]
	s_delay_alu instid0(VALU_DEP_1)
	v_dual_add_f64 v[10:11], v[10:11], v[16:17] :: v_dual_mov_b32 v8, v20
	v_mov_b64_e32 v[16:17], 0
	s_branch .LBB3_27
.LBB3_36:
                                        ; implicit-def: $vgpr2_vgpr3
	s_cbranch_execnz .LBB3_66
	s_branch .LBB3_76
.LBB3_37:
                                        ; implicit-def: $vgpr2_vgpr3
	s_cbranch_execnz .LBB3_47
	s_branch .LBB3_65
.LBB3_38:
                                        ; implicit-def: $vgpr2_vgpr3
	s_cbranch_execnz .LBB3_25
.LBB3_39:
	s_branch .LBB3_65
.LBB3_40:
	s_or_b32 exec_lo, exec_lo, s0
	v_cvt_f64_u32_e32 v[2:3], v7
	s_delay_alu instid0(VALU_DEP_1) | instskip(SKIP_1) | instid1(VALU_DEP_2)
	v_div_scale_f64 v[4:5], null, v[2:3], v[2:3], v[10:11]
	v_div_scale_f64 v[16:17], vcc_lo, v[10:11], v[2:3], v[10:11]
	v_rcp_f64_e32 v[12:13], v[4:5]
	v_nop
	s_delay_alu instid0(TRANS32_DEP_1) | instskip(NEXT) | instid1(VALU_DEP_1)
	v_fma_f64 v[14:15], -v[4:5], v[12:13], 1.0
	v_fmac_f64_e32 v[12:13], v[12:13], v[14:15]
	s_delay_alu instid0(VALU_DEP_1) | instskip(NEXT) | instid1(VALU_DEP_1)
	v_fma_f64 v[14:15], -v[4:5], v[12:13], 1.0
	v_fmac_f64_e32 v[12:13], v[12:13], v[14:15]
	s_delay_alu instid0(VALU_DEP_1) | instskip(NEXT) | instid1(VALU_DEP_1)
	v_mul_f64_e32 v[14:15], v[16:17], v[12:13]
	v_fma_f64 v[4:5], -v[4:5], v[14:15], v[16:17]
	s_delay_alu instid0(VALU_DEP_1) | instskip(NEXT) | instid1(VALU_DEP_1)
	v_div_fmas_f64 v[4:5], v[4:5], v[12:13], v[14:15]
	v_div_fixup_f64 v[2:3], v[4:5], v[2:3], v[10:11]
	v_cvt_f64_u32_e32 v[4:5], v8
	s_branch .LBB3_42
.LBB3_41:
	s_wait_xcnt 0x0
	v_mov_b64_e32 v[4:5], 0
	v_mov_b64_e32 v[2:3], 0x7ff8000000000000
.LBB3_42:
	v_mov_b32_e32 v9, 0
	v_mov_b32_e32 v1, 0x4c
	s_wait_kmcnt 0x0
	s_add_nc_u64 s[0:1], s[4:5], 0x54
	global_load_b64 v[10:11], v9, s[6:7] offset:48
	s_wait_loadcnt 0x0
	v_cmp_eq_f64_e32 vcc_lo, v[2:3], v[10:11]
	v_cndmask_b32_e32 v1, 0x50, v1, vcc_lo
	v_cmp_ngt_f64_e32 vcc_lo, v[2:3], v[10:11]
	s_delay_alu instid0(VALU_DEP_2) | instskip(NEXT) | instid1(VALU_DEP_1)
	v_dual_cndmask_b32 v8, 0x48, v1 :: v_dual_mov_b32 v1, 1
	v_add_nc_u64_e32 v[2:3], s[4:5], v[8:9]
	s_wait_xcnt 0x0
	global_atomic_add_u32 v[2:3], v1, off scope:SCOPE_DEV
	global_load_b64 v[8:9], v9, s[6:7] offset:56
	s_wait_xcnt 0x1
	v_mov_b64_e32 v[2:3], s[0:1]
	s_mov_b32 s0, exec_lo
	s_wait_loadcnt 0x0
	v_cmpx_ngt_f64_e32 v[4:5], v[8:9]
	s_xor_b32 s0, exec_lo, s0
	s_cbranch_execz .LBB3_46
; %bb.43:
	s_add_nc_u64 s[2:3], s[4:5], 0x58
	s_mov_b32 s1, exec_lo
	v_mov_b64_e32 v[2:3], s[2:3]
	v_cmpx_neq_f64_e32 v[4:5], v[8:9]
	s_xor_b32 s1, exec_lo, s1
; %bb.44:
	s_add_nc_u64 s[2:3], s[4:5], 0x5c
	s_delay_alu instid0(SALU_CYCLE_1)
	v_mov_b64_e32 v[2:3], s[2:3]
; %bb.45:
	s_and_not1_saveexec_b32 s1, s1
	s_delay_alu instid0(SALU_CYCLE_1)
	s_or_b32 exec_lo, exec_lo, s1
.LBB3_46:
	s_and_not1_saveexec_b32 s0, s0
	s_delay_alu instid0(SALU_CYCLE_1)
	s_or_b32 exec_lo, exec_lo, s0
	s_mov_b32 s1, -1
	s_branch .LBB3_65
.LBB3_47:
	s_cmp_eq_u32 s21, 1
                                        ; implicit-def: $vgpr2_vgpr3
	s_cbranch_scc0 .LBB3_65
; %bb.48:
	s_cmp_gt_u32 s12, 1
	s_cbranch_scc1 .LBB3_51
; %bb.49:
	v_mov_b32_e32 v7, 0
	s_cbranch_execz .LBB3_52
; %bb.50:
	v_mov_b64_e32 v[4:5], 1.0
	v_mov_b64_e32 v[2:3], 0
	s_branch .LBB3_55
.LBB3_51:
.LBB3_52:
	global_load_u8 v1, v6, s[16:17]
	v_mov_b32_e32 v7, 0
	v_add3_u32 v0, s20, s14, v0
	s_add_co_i32 s0, s12, -1
	s_wait_loadcnt 0x0
	v_cvt_f64_u32_e32 v[2:3], v1
	s_wait_kmcnt 0x0
	s_delay_alu instid0(VALU_DEP_1)
	v_cmp_le_f64_e64 s1, s[10:11], v[2:3]
	v_dual_mov_b32 v3, 1 :: v_dual_mov_b32 v1, v7
	v_mov_b32_e32 v2, 1
.LBB3_53:                               ; =>This Inner Loop Header: Depth=1
	global_load_u8 v4, v0, s[16:17]
	s_add_co_i32 s0, s0, -1
	s_wait_xcnt 0x0
	v_add_nc_u32_e32 v0, s14, v0
	s_wait_loadcnt 0x0
	v_cvt_f64_u32_e32 v[4:5], v4
	s_delay_alu instid0(VALU_DEP_1)
	v_cmp_le_f64_e64 s2, s[10:11], v[4:5]
	v_add_nc_u32_e32 v4, 1, v3
	v_max_u32_e32 v5, v3, v1
	s_xor_b32 vcc_lo, s1, s2
	s_cmp_lg_u32 s0, 0
	v_cndmask_b32_e64 v8, 0, 1, vcc_lo
	v_cndmask_b32_e64 v3, v4, 1, vcc_lo
	v_cndmask_b32_e32 v1, v1, v5, vcc_lo
	s_mov_b32 s1, s2
	s_delay_alu instid0(VALU_DEP_3)
	v_add_nc_u32_e32 v2, v2, v8
	s_cbranch_scc1 .LBB3_53
; %bb.54:
	s_delay_alu instid0(VALU_DEP_1)
	v_cvt_f64_u32_e32 v[4:5], v2
	v_cvt_f64_u32_e32 v[2:3], v1
.LBB3_55:
	v_mov_b32_e32 v1, 0
	s_add_co_i32 s1, s13, -1
	s_delay_alu instid0(SALU_CYCLE_1)
	s_cmp_lt_u32 s1, 2
	s_wait_kmcnt 0x0
	global_load_b64 v[8:9], v1, s[6:7] offset:32
	s_wait_loadcnt 0x0
	v_cmp_eq_f64_e32 vcc_lo, v[4:5], v[8:9]
	v_cndmask_b32_e64 v0, 56, 52, vcc_lo
	v_cmp_ngt_f64_e32 vcc_lo, v[4:5], v[8:9]
	s_delay_alu instid0(VALU_DEP_2) | instskip(NEXT) | instid1(VALU_DEP_1)
	v_dual_mov_b32 v4, 1 :: v_dual_cndmask_b32 v0, 48, v0, vcc_lo
	v_add_nc_u64_e32 v[8:9], s[4:5], v[0:1]
	s_wait_xcnt 0x0
	global_atomic_add_u32 v[8:9], v4, off scope:SCOPE_DEV
	global_load_b64 v[8:9], v1, s[6:7] offset:40
	s_wait_loadcnt 0x0
	v_cmp_eq_f64_e32 vcc_lo, v[2:3], v[8:9]
	v_cndmask_b32_e64 v0, 0x44, 64, vcc_lo
	v_cmp_ngt_f64_e32 vcc_lo, v[2:3], v[8:9]
	v_add_nc_u64_e32 v[8:9], s[18:19], v[6:7]
	s_delay_alu instid0(VALU_DEP_3) | instskip(NEXT) | instid1(VALU_DEP_1)
	v_cndmask_b32_e32 v0, 60, v0, vcc_lo
	v_add_nc_u64_e32 v[2:3], s[4:5], v[0:1]
	s_wait_xcnt 0x0
	global_atomic_add_u32 v[2:3], v4, off scope:SCOPE_DEV
	global_load_u8 v0, v[8:9], off
	s_wait_xcnt 0x1
	v_add_nc_u32_e32 v2, s14, v6
	global_load_u8 v2, v2, s[18:19]
	s_wait_loadcnt 0x1
	v_lshrrev_b16 v3, 7, v0
	v_lshrrev_b16 v5, 6, v0
	;; [unrolled: 1-line block ×3, first 2 shown]
	s_wait_xcnt 0x1
	v_lshrrev_b16 v8, 4, v0
	v_lshrrev_b16 v9, 3, v0
	;; [unrolled: 1-line block ×4, first 2 shown]
	v_and_b32_e32 v0, 1, v0
	s_wait_loadcnt 0x0
	v_lshrrev_b16 v12, 7, v2
	v_lshrrev_b16 v13, 6, v2
	v_and_b32_e32 v14, 1, v2
	v_lshrrev_b16 v15, 5, v2
	v_and_b32_e32 v5, 1, v5
	v_add_nc_u16 v0, v0, v3
	v_and_b32_e32 v3, 1, v13
	v_add_nc_u16 v12, v14, v12
	v_lshrrev_b16 v13, 4, v2
	v_and_b32_e32 v7, 1, v7
	v_and_b32_e32 v14, 1, v15
	v_add_nc_u16 v0, v0, v5
	v_add_nc_u16 v3, v12, v3
	v_lshrrev_b16 v5, 3, v2
	v_and_b32_e32 v8, 1, v8
	v_and_b32_e32 v12, 1, v13
	v_add_nc_u16 v0, v0, v7
	v_add_nc_u16 v3, v3, v14
	v_lshrrev_b16 v7, 2, v2
	v_and_b32_e32 v9, 1, v9
	v_and_b32_e32 v5, 1, v5
	v_add_nc_u16 v0, v0, v8
	v_add_nc_u16 v3, v3, v12
	s_wait_xcnt 0x0
	v_lshrrev_b16 v2, 1, v2
	v_and_b32_e32 v8, 1, v10
	v_and_b32_e32 v7, 1, v7
	v_add_nc_u16 v0, v0, v9
	v_add_nc_u16 v3, v3, v5
	v_and_b32_e32 v5, 1, v11
	v_and_b32_e32 v2, 1, v2
	s_delay_alu instid0(VALU_DEP_4) | instskip(NEXT) | instid1(VALU_DEP_4)
	v_add_nc_u16 v0, v0, v8
	v_add_nc_u16 v3, v3, v7
	s_delay_alu instid0(VALU_DEP_2) | instskip(NEXT) | instid1(VALU_DEP_2)
	v_add_nc_u16 v0, v0, v5
	v_add_nc_u16 v2, v3, v2
	s_delay_alu instid0(VALU_DEP_2) | instskip(NEXT) | instid1(VALU_DEP_2)
	v_and_b32_e32 v0, 0xff, v0
	v_and_b32_e32 v2, 0xff, v2
	s_delay_alu instid0(VALU_DEP_1)
	v_cmp_le_u16_e64 s0, v0, v2
	s_cbranch_scc1 .LBB3_59
; %bb.56:
	v_dual_mov_b32 v2, v6 :: v_dual_mov_b32 v0, 1
	v_mov_b32_e32 v5, 0
	s_add_co_i32 s1, s13, -2
	s_lshl_b32 s2, s14, 1
                                        ; implicit-def: $sgpr3
.LBB3_57:                               ; =>This Inner Loop Header: Depth=1
	s_delay_alu instid0(VALU_DEP_2) | instid1(SALU_CYCLE_1)
	v_dual_add_nc_u32 v3, s14, v2 :: v_dual_add_nc_u32 v2, s2, v2
	s_and_not1_b32 s3, s3, exec_lo
	s_add_co_i32 s1, s1, -1
	s_clause 0x1
	global_load_u8 v7, v3, s[18:19]
	global_load_u8 v8, v2, s[18:19]
	s_wait_loadcnt 0x1
	s_wait_xcnt 0x0
	v_lshrrev_b16 v2, 7, v7
	v_lshrrev_b16 v9, 6, v7
	;; [unrolled: 1-line block ×7, first 2 shown]
	v_and_b32_e32 v7, 1, v7
	v_and_b32_e32 v9, 1, v9
	;; [unrolled: 1-line block ×3, first 2 shown]
	s_wait_loadcnt 0x0
	v_lshrrev_b16 v15, 7, v8
	v_lshrrev_b16 v16, 6, v8
	v_add_nc_u16 v2, v7, v2
	v_and_b32_e32 v21, 1, v8
	v_lshrrev_b16 v17, 5, v8
	v_lshrrev_b16 v18, 4, v8
	;; [unrolled: 1-line block ×3, first 2 shown]
	v_add_nc_u16 v2, v2, v9
	v_and_b32_e32 v9, 1, v11
	v_add_nc_u16 v15, v21, v15
	v_and_b32_e32 v11, 1, v18
	v_lshrrev_b16 v20, 2, v8
	v_add_nc_u16 v2, v2, v10
	v_and_b32_e32 v10, 1, v12
	v_and_b32_e32 v12, 1, v19
	v_lshrrev_b16 v8, 1, v8
	s_delay_alu instid0(VALU_DEP_4) | instskip(SKIP_1) | instid1(VALU_DEP_3)
	v_add_nc_u16 v2, v2, v9
	v_and_b32_e32 v9, 1, v13
	v_and_b32_e32 v8, 1, v8
	s_delay_alu instid0(VALU_DEP_3) | instskip(SKIP_1) | instid1(VALU_DEP_2)
	v_add_nc_u16 v2, v2, v10
	v_and_b32_e32 v10, 1, v14
	v_add_nc_u16 v2, v2, v9
	v_add_nc_u32_e32 v9, 1, v4
	s_delay_alu instid0(VALU_DEP_2) | instskip(SKIP_3) | instid1(VALU_DEP_4)
	v_add_nc_u16 v2, v2, v10
	v_max_u32_e32 v10, v4, v1
	v_and_b32_e32 v7, 1, v16
	v_and_b32_e32 v16, 1, v17
	;; [unrolled: 1-line block ×3, first 2 shown]
	s_delay_alu instid0(VALU_DEP_3) | instskip(NEXT) | instid1(VALU_DEP_1)
	v_add_nc_u16 v7, v15, v7
	v_add_nc_u16 v7, v7, v16
	s_delay_alu instid0(VALU_DEP_1) | instskip(SKIP_1) | instid1(VALU_DEP_2)
	v_add_nc_u16 v7, v7, v11
	v_and_b32_e32 v11, 1, v20
	v_add_nc_u16 v7, v7, v12
	s_delay_alu instid0(VALU_DEP_1) | instskip(NEXT) | instid1(VALU_DEP_1)
	v_add_nc_u16 v7, v7, v11
	v_add_nc_u16 v7, v7, v8
	v_cndmask_b32_e64 v8, 0, 1, s0
	s_delay_alu instid0(VALU_DEP_2) | instskip(NEXT) | instid1(VALU_DEP_2)
	v_and_b32_e32 v7, 0xff, v7
	v_add_nc_u32_e32 v5, v5, v8
	s_delay_alu instid0(VALU_DEP_2)
	v_cmp_le_u16_e64 s10, v2, v7
	v_mov_b32_e32 v2, v3
	s_xor_b32 vcc_lo, s0, s10
	s_and_b32 s0, s10, exec_lo
	v_cndmask_b32_e64 v7, 0, 1, vcc_lo
	v_cndmask_b32_e64 v4, v9, 1, vcc_lo
	v_cndmask_b32_e32 v1, v1, v10, vcc_lo
	s_or_b32 s3, s3, s0
	s_cmp_lg_u32 s1, 0
	v_add_nc_u32_e32 v0, v0, v7
	s_mov_b32 s0, s10
	s_cbranch_scc1 .LBB3_57
; %bb.58:
	s_delay_alu instid0(VALU_DEP_1)
	v_cvt_f64_u32_e32 v[2:3], v0
	v_cvt_f64_u32_e32 v[0:1], v1
	s_mov_b32 s0, s3
	s_branch .LBB3_60
.LBB3_59:
	v_mov_b64_e32 v[2:3], 1.0
	v_mov_b64_e32 v[0:1], 0
	v_mov_b32_e32 v5, 0
.LBB3_60:
	v_mov_b32_e32 v9, 0
	global_load_b64 v[10:11], v9, s[6:7] offset:8
	s_wait_loadcnt 0x0
	v_cmp_eq_f64_e32 vcc_lo, v[2:3], v[10:11]
	v_cndmask_b32_e64 v4, 20, 16, vcc_lo
	v_cmp_ngt_f64_e32 vcc_lo, v[2:3], v[10:11]
	s_delay_alu instid0(VALU_DEP_2) | instskip(NEXT) | instid1(VALU_DEP_1)
	v_dual_cndmask_b32 v8, 12, v4, vcc_lo :: v_dual_mov_b32 v4, 1
	v_add_nc_u64_e32 v[2:3], s[4:5], v[8:9]
	s_wait_xcnt 0x0
	global_atomic_add_u32 v[2:3], v4, off scope:SCOPE_DEV
	global_load_b64 v[2:3], v9, s[6:7] offset:16
	s_wait_loadcnt 0x0
	v_cmp_eq_f64_e32 vcc_lo, v[0:1], v[2:3]
	v_cndmask_b32_e64 v7, 32, 28, vcc_lo
	v_cmp_ngt_f64_e32 vcc_lo, v[0:1], v[2:3]
	v_cndmask_b32_e64 v2, 0, 1, s0
	s_add_nc_u64 s[0:1], s[4:5], 36
	s_delay_alu instid0(VALU_DEP_1) | instskip(NEXT) | instid1(VALU_DEP_1)
	v_add_nc_u32_e32 v2, v5, v2
	v_sub_nc_u32_e32 v3, s13, v2
	s_delay_alu instid0(VALU_DEP_1) | instskip(SKIP_1) | instid1(VALU_DEP_1)
	v_max_u32_e32 v2, v2, v3
	v_cndmask_b32_e32 v8, 24, v7, vcc_lo
	v_add_nc_u64_e32 v[0:1], s[4:5], v[8:9]
	s_wait_xcnt 0x0
	global_atomic_add_u32 v[0:1], v4, off scope:SCOPE_DEV
	global_load_b64 v[0:1], v9, s[6:7] offset:24
	v_cvt_f64_u32_e32 v[4:5], v2
	v_mov_b64_e32 v[2:3], s[0:1]
	s_mov_b32 s0, exec_lo
	s_wait_loadcnt 0x0
	s_delay_alu instid0(VALU_DEP_2)
	v_cmpx_nlt_f64_e32 v[0:1], v[4:5]
	s_xor_b32 s0, exec_lo, s0
	s_cbranch_execz .LBB3_64
; %bb.61:
	s_add_nc_u64 s[2:3], s[4:5], 40
	s_mov_b32 s1, exec_lo
	v_mov_b64_e32 v[2:3], s[2:3]
	v_cmpx_neq_f64_e32 v[0:1], v[4:5]
	s_xor_b32 s1, exec_lo, s1
; %bb.62:
	s_add_nc_u64 s[2:3], s[4:5], 44
	s_delay_alu instid0(SALU_CYCLE_1)
	v_mov_b64_e32 v[2:3], s[2:3]
; %bb.63:
	s_and_not1_saveexec_b32 s1, s1
	s_delay_alu instid0(SALU_CYCLE_1)
	s_or_b32 exec_lo, exec_lo, s1
.LBB3_64:
	s_and_not1_saveexec_b32 s0, s0
	s_delay_alu instid0(SALU_CYCLE_1)
	s_or_b32 exec_lo, exec_lo, s0
	s_mov_b32 s1, -1
.LBB3_65:
	s_branch .LBB3_76
.LBB3_66:
	s_cmp_eq_u32 s12, 0
	s_mov_b32 s13, 0
	s_cbranch_scc1 .LBB3_70
; %bb.67:
	v_mov_b32_e32 v7, 0
	v_mov_b64_e32 v[0:1], 0
	v_mov_b64_e32 v[4:5], 0
	s_mov_b32 s15, s13
	s_mov_b64 s[0:1], 0
	v_add_nc_u64_e32 v[2:3], s[16:17], v[6:7]
.LBB3_68:                               ; =>This Inner Loop Header: Depth=1
	global_load_u8 v10, v[2:3], off
	s_add_nc_u64 s[0:1], s[0:1], 1
	s_wait_xcnt 0x0
	v_add_nc_u64_e32 v[2:3], s[14:15], v[2:3]
	v_cvt_f64_u32_e32 v[6:7], s1
	v_cvt_f64_u32_e32 v[8:9], s0
	s_cmp_lg_u64 s[12:13], s[0:1]
	s_delay_alu instid0(VALU_DEP_2) | instskip(NEXT) | instid1(VALU_DEP_1)
	v_ldexp_f64 v[6:7], v[6:7], 32
	v_add_f64_e32 v[6:7], v[6:7], v[8:9]
	s_wait_loadcnt 0x0
	v_cvt_f64_u32_e32 v[10:11], v10
	s_delay_alu instid0(VALU_DEP_1) | instskip(SKIP_1) | instid1(VALU_DEP_1)
	v_add_f64_e32 v[0:1], v[0:1], v[10:11]
	s_wait_kmcnt 0x0
	v_fma_f64 v[6:7], -s[8:9], v[6:7], v[0:1]
	s_delay_alu instid0(VALU_DEP_1) | instskip(SKIP_1) | instid1(VALU_DEP_1)
	v_cmp_lt_f64_e64 vcc_lo, v[4:5], |v[6:7]|
	v_and_b32_e32 v8, 0x7fffffff, v7
	v_dual_cndmask_b32 v5, v5, v8 :: v_dual_cndmask_b32 v4, v4, v6
	s_cbranch_scc1 .LBB3_68
; %bb.69:
	s_delay_alu instid0(VALU_DEP_1)
	v_cvt_f32_f64_e32 v0, v[4:5]
	s_branch .LBB3_71
.LBB3_70:
	v_mov_b32_e32 v0, 0
.LBB3_71:
	v_mov_b32_e32 v1, 0
	s_mov_b32 s0, exec_lo
	s_wait_kmcnt 0x0
	global_load_b64 v[2:3], v1, s[6:7]
	s_wait_loadcnt 0x0
	v_cvt_f32_f64_e32 v1, v[2:3]
	v_mov_b64_e32 v[2:3], s[4:5]
	s_delay_alu instid0(VALU_DEP_2)
	v_cmpx_ngt_f32_e32 v0, v1
	s_cbranch_execz .LBB3_75
; %bb.72:
	s_add_nc_u64 s[2:3], s[4:5], 4
	s_mov_b32 s1, exec_lo
	v_mov_b64_e32 v[2:3], s[2:3]
	v_cmpx_neq_f32_e32 v0, v1
	s_xor_b32 s1, exec_lo, s1
; %bb.73:
	s_add_nc_u64 s[2:3], s[4:5], 8
	s_delay_alu instid0(SALU_CYCLE_1)
	v_mov_b64_e32 v[2:3], s[2:3]
; %bb.74:
	s_and_not1_saveexec_b32 s1, s1
	s_delay_alu instid0(SALU_CYCLE_1)
	s_or_b32 exec_lo, exec_lo, s1
.LBB3_75:
	s_delay_alu instid0(SALU_CYCLE_1)
	s_or_b32 exec_lo, exec_lo, s0
	s_mov_b32 s1, -1
.LBB3_76:
	s_delay_alu instid0(SALU_CYCLE_1)
	s_and_b32 vcc_lo, exec_lo, s1
	s_cbranch_vccnz .LBB3_78
; %bb.77:
	s_endpgm
.LBB3_78:
	v_mov_b32_e32 v0, 1
	global_atomic_add_u32 v[2:3], v0, off scope:SCOPE_DEV
	s_endpgm
	.section	.rodata,"a",@progbits
	.p2align	6, 0x0
	.amdhsa_kernel _Z31binary_statistical_tests_kernelPjPKdddPKhS3_jjjjj
		.amdhsa_group_segment_fixed_size 0
		.amdhsa_private_segment_fixed_size 272
		.amdhsa_kernarg_size 328
		.amdhsa_user_sgpr_count 2
		.amdhsa_user_sgpr_dispatch_ptr 0
		.amdhsa_user_sgpr_queue_ptr 0
		.amdhsa_user_sgpr_kernarg_segment_ptr 1
		.amdhsa_user_sgpr_dispatch_id 0
		.amdhsa_user_sgpr_kernarg_preload_length 0
		.amdhsa_user_sgpr_kernarg_preload_offset 0
		.amdhsa_user_sgpr_private_segment_size 0
		.amdhsa_wavefront_size32 1
		.amdhsa_uses_dynamic_stack 0
		.amdhsa_enable_private_segment 1
		.amdhsa_system_sgpr_workgroup_id_x 1
		.amdhsa_system_sgpr_workgroup_id_y 0
		.amdhsa_system_sgpr_workgroup_id_z 0
		.amdhsa_system_sgpr_workgroup_info 0
		.amdhsa_system_vgpr_workitem_id 0
		.amdhsa_next_free_vgpr 26
		.amdhsa_next_free_sgpr 28
		.amdhsa_named_barrier_count 0
		.amdhsa_reserve_vcc 1
		.amdhsa_float_round_mode_32 0
		.amdhsa_float_round_mode_16_64 0
		.amdhsa_float_denorm_mode_32 3
		.amdhsa_float_denorm_mode_16_64 3
		.amdhsa_fp16_overflow 0
		.amdhsa_memory_ordered 1
		.amdhsa_forward_progress 1
		.amdhsa_inst_pref_size 51
		.amdhsa_round_robin_scheduling 0
		.amdhsa_exception_fp_ieee_invalid_op 0
		.amdhsa_exception_fp_denorm_src 0
		.amdhsa_exception_fp_ieee_div_zero 0
		.amdhsa_exception_fp_ieee_overflow 0
		.amdhsa_exception_fp_ieee_underflow 0
		.amdhsa_exception_fp_ieee_inexact 0
		.amdhsa_exception_int_div_zero 0
	.end_amdhsa_kernel
	.text
.Lfunc_end3:
	.size	_Z31binary_statistical_tests_kernelPjPKdddPKhS3_jjjjj, .Lfunc_end3-_Z31binary_statistical_tests_kernelPjPKdddPKhS3_jjjjj
                                        ; -- End function
	.set _Z31binary_statistical_tests_kernelPjPKdddPKhS3_jjjjj.num_vgpr, 26
	.set _Z31binary_statistical_tests_kernelPjPKdddPKhS3_jjjjj.num_agpr, 0
	.set _Z31binary_statistical_tests_kernelPjPKdddPKhS3_jjjjj.numbered_sgpr, 28
	.set _Z31binary_statistical_tests_kernelPjPKdddPKhS3_jjjjj.num_named_barrier, 0
	.set _Z31binary_statistical_tests_kernelPjPKdddPKhS3_jjjjj.private_seg_size, 272
	.set _Z31binary_statistical_tests_kernelPjPKdddPKhS3_jjjjj.uses_vcc, 1
	.set _Z31binary_statistical_tests_kernelPjPKdddPKhS3_jjjjj.uses_flat_scratch, 1
	.set _Z31binary_statistical_tests_kernelPjPKdddPKhS3_jjjjj.has_dyn_sized_stack, 0
	.set _Z31binary_statistical_tests_kernelPjPKdddPKhS3_jjjjj.has_recursion, 0
	.set _Z31binary_statistical_tests_kernelPjPKdddPKhS3_jjjjj.has_indirect_call, 0
	.section	.AMDGPU.csdata,"",@progbits
; Kernel info:
; codeLenInByte = 6412
; TotalNumSgprs: 30
; NumVgprs: 26
; ScratchSize: 272
; MemoryBound: 0
; FloatMode: 240
; IeeeMode: 1
; LDSByteSize: 0 bytes/workgroup (compile time only)
; SGPRBlocks: 0
; VGPRBlocks: 1
; NumSGPRsForWavesPerEU: 30
; NumVGPRsForWavesPerEU: 26
; NamedBarCnt: 0
; Occupancy: 16
; WaveLimiterHint : 0
; COMPUTE_PGM_RSRC2:SCRATCH_EN: 1
; COMPUTE_PGM_RSRC2:USER_SGPR: 2
; COMPUTE_PGM_RSRC2:TRAP_HANDLER: 0
; COMPUTE_PGM_RSRC2:TGID_X_EN: 1
; COMPUTE_PGM_RSRC2:TGID_Y_EN: 0
; COMPUTE_PGM_RSRC2:TGID_Z_EN: 0
; COMPUTE_PGM_RSRC2:TIDIG_COMP_CNT: 0
	.text
	.p2alignl 7, 3214868480
	.fill 96, 4, 3214868480
	.section	.AMDGPU.gpr_maximums,"",@progbits
	.set amdgpu.max_num_vgpr, 0
	.set amdgpu.max_num_agpr, 0
	.set amdgpu.max_num_sgpr, 0
	.text
	.type	__hip_cuid_e468dc74a1274c3e,@object ; @__hip_cuid_e468dc74a1274c3e
	.section	.bss,"aw",@nobits
	.globl	__hip_cuid_e468dc74a1274c3e
__hip_cuid_e468dc74a1274c3e:
	.byte	0                               ; 0x0
	.size	__hip_cuid_e468dc74a1274c3e, 1

	.ident	"AMD clang version 22.0.0git (https://github.com/RadeonOpenCompute/llvm-project roc-7.2.4 26084 f58b06dce1f9c15707c5f808fd002e18c2accf7e)"
	.section	".note.GNU-stack","",@progbits
	.addrsig
	.addrsig_sym __hip_cuid_e468dc74a1274c3e
	.amdgpu_metadata
---
amdhsa.kernels:
  - .args:
      - .address_space:  global
        .offset:         0
        .size:           8
        .value_kind:     global_buffer
      - .address_space:  global
        .offset:         8
        .size:           8
        .value_kind:     global_buffer
      - .offset:         16
        .size:           4
        .value_kind:     by_value
      - .offset:         20
        .size:           4
        .value_kind:     by_value
      - .offset:         24
        .size:           4
        .value_kind:     hidden_block_count_x
      - .offset:         28
        .size:           4
        .value_kind:     hidden_block_count_y
      - .offset:         32
        .size:           4
        .value_kind:     hidden_block_count_z
      - .offset:         36
        .size:           2
        .value_kind:     hidden_group_size_x
      - .offset:         38
        .size:           2
        .value_kind:     hidden_group_size_y
      - .offset:         40
        .size:           2
        .value_kind:     hidden_group_size_z
      - .offset:         42
        .size:           2
        .value_kind:     hidden_remainder_x
      - .offset:         44
        .size:           2
        .value_kind:     hidden_remainder_y
      - .offset:         46
        .size:           2
        .value_kind:     hidden_remainder_z
      - .offset:         64
        .size:           8
        .value_kind:     hidden_global_offset_x
      - .offset:         72
        .size:           8
        .value_kind:     hidden_global_offset_y
      - .offset:         80
        .size:           8
        .value_kind:     hidden_global_offset_z
      - .offset:         88
        .size:           2
        .value_kind:     hidden_grid_dims
    .group_segment_fixed_size: 0
    .kernarg_segment_align: 8
    .kernarg_segment_size: 280
    .language:       OpenCL C
    .language_version:
      - 2
      - 0
    .max_flat_workgroup_size: 1024
    .name:           _Z16shuffling_kernelPhPKhjj
    .private_segment_fixed_size: 0
    .sgpr_count:     14
    .sgpr_spill_count: 0
    .symbol:         _Z16shuffling_kernelPhPKhjj.kd
    .uniform_work_group_size: 1
    .uses_dynamic_stack: false
    .vgpr_count:     13
    .vgpr_spill_count: 0
    .wavefront_size: 32
  - .args:
      - .address_space:  global
        .offset:         0
        .size:           8
        .value_kind:     global_buffer
      - .address_space:  global
        .offset:         8
        .size:           8
        .value_kind:     global_buffer
      - .offset:         16
        .size:           8
        .value_kind:     by_value
      - .offset:         24
        .size:           8
        .value_kind:     by_value
      - .address_space:  global
        .offset:         32
        .size:           8
        .value_kind:     global_buffer
      - .offset:         40
        .size:           4
        .value_kind:     by_value
      - .offset:         44
        .size:           4
        .value_kind:     by_value
      - .offset:         48
        .size:           4
        .value_kind:     by_value
      - .offset:         52
        .size:           4
        .value_kind:     by_value
      - .offset:         56
        .size:           4
        .value_kind:     hidden_block_count_x
      - .offset:         60
        .size:           4
        .value_kind:     hidden_block_count_y
      - .offset:         64
        .size:           4
        .value_kind:     hidden_block_count_z
      - .offset:         68
        .size:           2
        .value_kind:     hidden_group_size_x
      - .offset:         70
        .size:           2
        .value_kind:     hidden_group_size_y
      - .offset:         72
        .size:           2
        .value_kind:     hidden_group_size_z
      - .offset:         74
        .size:           2
        .value_kind:     hidden_remainder_x
      - .offset:         76
        .size:           2
        .value_kind:     hidden_remainder_y
      - .offset:         78
        .size:           2
        .value_kind:     hidden_remainder_z
      - .offset:         96
        .size:           8
        .value_kind:     hidden_global_offset_x
      - .offset:         104
        .size:           8
        .value_kind:     hidden_global_offset_y
      - .offset:         112
        .size:           8
        .value_kind:     hidden_global_offset_z
      - .offset:         120
        .size:           2
        .value_kind:     hidden_grid_dims
    .group_segment_fixed_size: 0
    .kernarg_segment_align: 8
    .kernarg_segment_size: 312
    .language:       OpenCL C
    .language_version:
      - 2
      - 0
    .max_flat_workgroup_size: 1024
    .name:           _Z24statistical_tests_kernelPjPKdddPKhjjjj
    .private_segment_fixed_size: 272
    .sgpr_count:     26
    .sgpr_spill_count: 0
    .symbol:         _Z24statistical_tests_kernelPjPKdddPKhjjjj.kd
    .uniform_work_group_size: 1
    .uses_dynamic_stack: false
    .vgpr_count:     22
    .vgpr_spill_count: 0
    .wavefront_size: 32
  - .args:
      - .address_space:  global
        .offset:         0
        .size:           8
        .value_kind:     global_buffer
      - .address_space:  global
        .offset:         8
        .size:           8
        .value_kind:     global_buffer
      - .address_space:  global
        .offset:         16
        .size:           8
        .value_kind:     global_buffer
      - .offset:         24
        .size:           4
        .value_kind:     by_value
      - .offset:         28
        .size:           4
        .value_kind:     by_value
      - .offset:         32
        .size:           4
        .value_kind:     by_value
      - .offset:         40
        .size:           4
        .value_kind:     hidden_block_count_x
      - .offset:         44
        .size:           4
        .value_kind:     hidden_block_count_y
      - .offset:         48
        .size:           4
        .value_kind:     hidden_block_count_z
      - .offset:         52
        .size:           2
        .value_kind:     hidden_group_size_x
      - .offset:         54
        .size:           2
        .value_kind:     hidden_group_size_y
      - .offset:         56
        .size:           2
        .value_kind:     hidden_group_size_z
      - .offset:         58
        .size:           2
        .value_kind:     hidden_remainder_x
      - .offset:         60
        .size:           2
        .value_kind:     hidden_remainder_y
      - .offset:         62
        .size:           2
        .value_kind:     hidden_remainder_z
      - .offset:         80
        .size:           8
        .value_kind:     hidden_global_offset_x
      - .offset:         88
        .size:           8
        .value_kind:     hidden_global_offset_y
      - .offset:         96
        .size:           8
        .value_kind:     hidden_global_offset_z
      - .offset:         104
        .size:           2
        .value_kind:     hidden_grid_dims
    .group_segment_fixed_size: 0
    .kernarg_segment_align: 8
    .kernarg_segment_size: 296
    .language:       OpenCL C
    .language_version:
      - 2
      - 0
    .max_flat_workgroup_size: 1024
    .name:           _Z23binary_shuffling_kernelPhS_PKhjjj
    .private_segment_fixed_size: 0
    .sgpr_count:     15
    .sgpr_spill_count: 0
    .symbol:         _Z23binary_shuffling_kernelPhS_PKhjjj.kd
    .uniform_work_group_size: 1
    .uses_dynamic_stack: false
    .vgpr_count:     22
    .vgpr_spill_count: 0
    .wavefront_size: 32
  - .args:
      - .address_space:  global
        .offset:         0
        .size:           8
        .value_kind:     global_buffer
      - .address_space:  global
        .offset:         8
        .size:           8
        .value_kind:     global_buffer
      - .offset:         16
        .size:           8
        .value_kind:     by_value
      - .offset:         24
        .size:           8
        .value_kind:     by_value
      - .address_space:  global
        .offset:         32
        .size:           8
        .value_kind:     global_buffer
      - .address_space:  global
        .offset:         40
        .size:           8
        .value_kind:     global_buffer
      - .offset:         48
        .size:           4
        .value_kind:     by_value
      - .offset:         52
        .size:           4
        .value_kind:     by_value
      - .offset:         56
        .size:           4
        .value_kind:     by_value
      - .offset:         60
        .size:           4
        .value_kind:     by_value
      - .offset:         64
        .size:           4
        .value_kind:     by_value
      - .offset:         72
        .size:           4
        .value_kind:     hidden_block_count_x
      - .offset:         76
        .size:           4
        .value_kind:     hidden_block_count_y
      - .offset:         80
        .size:           4
        .value_kind:     hidden_block_count_z
      - .offset:         84
        .size:           2
        .value_kind:     hidden_group_size_x
      - .offset:         86
        .size:           2
        .value_kind:     hidden_group_size_y
      - .offset:         88
        .size:           2
        .value_kind:     hidden_group_size_z
      - .offset:         90
        .size:           2
        .value_kind:     hidden_remainder_x
      - .offset:         92
        .size:           2
        .value_kind:     hidden_remainder_y
      - .offset:         94
        .size:           2
        .value_kind:     hidden_remainder_z
      - .offset:         112
        .size:           8
        .value_kind:     hidden_global_offset_x
      - .offset:         120
        .size:           8
        .value_kind:     hidden_global_offset_y
      - .offset:         128
        .size:           8
        .value_kind:     hidden_global_offset_z
      - .offset:         136
        .size:           2
        .value_kind:     hidden_grid_dims
    .group_segment_fixed_size: 0
    .kernarg_segment_align: 8
    .kernarg_segment_size: 328
    .language:       OpenCL C
    .language_version:
      - 2
      - 0
    .max_flat_workgroup_size: 1024
    .name:           _Z31binary_statistical_tests_kernelPjPKdddPKhS3_jjjjj
    .private_segment_fixed_size: 272
    .sgpr_count:     30
    .sgpr_spill_count: 0
    .symbol:         _Z31binary_statistical_tests_kernelPjPKdddPKhS3_jjjjj.kd
    .uniform_work_group_size: 1
    .uses_dynamic_stack: false
    .vgpr_count:     26
    .vgpr_spill_count: 0
    .wavefront_size: 32
amdhsa.target:   amdgcn-amd-amdhsa--gfx1250
amdhsa.version:
  - 1
  - 2
...

	.end_amdgpu_metadata
